;; amdgpu-corpus repo=ROCm/hipCUB kind=compiled arch=gfx90a opt=O3
	.text
	.amdgcn_target "amdgcn-amd-amdhsa--gfx90a"
	.amdhsa_code_object_version 6
	.protected	_Z14warp_id_kernelPj    ; -- Begin function _Z14warp_id_kernelPj
	.globl	_Z14warp_id_kernelPj
	.p2align	8
	.type	_Z14warp_id_kernelPj,@function
_Z14warp_id_kernelPj:                   ; @_Z14warp_id_kernelPj
; %bb.0:
	s_load_dword s2, s[4:5], 0x14
	s_load_dwordx2 s[0:1], s[4:5], 0x0
	v_and_b32_e32 v2, 0x3ff, v0
	v_bfe_u32 v1, v0, 10, 10
	v_bfe_u32 v0, v0, 20, 10
	s_waitcnt lgkmcnt(0)
	s_lshr_b32 s3, s2, 16
	s_and_b32 s2, s2, 0xffff
	s_mul_i32 s6, s6, s2
	v_mad_u32_u24 v0, v0, s3, v1
	v_add_u32_e32 v4, s6, v2
	v_mad_u64_u32 v[0:1], s[2:3], v0, s2, v[2:3]
	v_mov_b32_e32 v5, 0
	v_lshrrev_b32_e32 v2, 6, v0
	v_lshlrev_b64 v[0:1], 2, v[4:5]
	v_mov_b32_e32 v3, s1
	v_add_co_u32_e32 v0, vcc, s0, v0
	v_addc_co_u32_e32 v1, vcc, v3, v1, vcc
	global_store_dword v[0:1], v2, off
	s_endpgm
	.section	.rodata,"a",@progbits
	.p2align	6, 0x0
	.amdhsa_kernel _Z14warp_id_kernelPj
		.amdhsa_group_segment_fixed_size 0
		.amdhsa_private_segment_fixed_size 0
		.amdhsa_kernarg_size 264
		.amdhsa_user_sgpr_count 6
		.amdhsa_user_sgpr_private_segment_buffer 1
		.amdhsa_user_sgpr_dispatch_ptr 0
		.amdhsa_user_sgpr_queue_ptr 0
		.amdhsa_user_sgpr_kernarg_segment_ptr 1
		.amdhsa_user_sgpr_dispatch_id 0
		.amdhsa_user_sgpr_flat_scratch_init 0
		.amdhsa_user_sgpr_kernarg_preload_length 0
		.amdhsa_user_sgpr_kernarg_preload_offset 0
		.amdhsa_user_sgpr_private_segment_size 0
		.amdhsa_uses_dynamic_stack 0
		.amdhsa_system_sgpr_private_segment_wavefront_offset 0
		.amdhsa_system_sgpr_workgroup_id_x 1
		.amdhsa_system_sgpr_workgroup_id_y 0
		.amdhsa_system_sgpr_workgroup_id_z 0
		.amdhsa_system_sgpr_workgroup_info 0
		.amdhsa_system_vgpr_workitem_id 2
		.amdhsa_next_free_vgpr 6
		.amdhsa_next_free_sgpr 7
		.amdhsa_accum_offset 8
		.amdhsa_reserve_vcc 1
		.amdhsa_reserve_flat_scratch 0
		.amdhsa_float_round_mode_32 0
		.amdhsa_float_round_mode_16_64 0
		.amdhsa_float_denorm_mode_32 3
		.amdhsa_float_denorm_mode_16_64 3
		.amdhsa_dx10_clamp 1
		.amdhsa_ieee_mode 1
		.amdhsa_fp16_overflow 0
		.amdhsa_tg_split 0
		.amdhsa_exception_fp_ieee_invalid_op 0
		.amdhsa_exception_fp_denorm_src 0
		.amdhsa_exception_fp_ieee_div_zero 0
		.amdhsa_exception_fp_ieee_overflow 0
		.amdhsa_exception_fp_ieee_underflow 0
		.amdhsa_exception_fp_ieee_inexact 0
		.amdhsa_exception_int_div_zero 0
	.end_amdhsa_kernel
	.text
.Lfunc_end0:
	.size	_Z14warp_id_kernelPj, .Lfunc_end0-_Z14warp_id_kernelPj
                                        ; -- End function
	.section	.AMDGPU.csdata,"",@progbits
; Kernel info:
; codeLenInByte = 120
; NumSgprs: 11
; NumVgprs: 6
; NumAgprs: 0
; TotalNumVgprs: 6
; ScratchSize: 0
; MemoryBound: 0
; FloatMode: 240
; IeeeMode: 1
; LDSByteSize: 0 bytes/workgroup (compile time only)
; SGPRBlocks: 1
; VGPRBlocks: 0
; NumSGPRsForWavesPerEU: 11
; NumVGPRsForWavesPerEU: 6
; AccumOffset: 8
; Occupancy: 8
; WaveLimiterHint : 0
; COMPUTE_PGM_RSRC2:SCRATCH_EN: 0
; COMPUTE_PGM_RSRC2:USER_SGPR: 6
; COMPUTE_PGM_RSRC2:TRAP_HANDLER: 0
; COMPUTE_PGM_RSRC2:TGID_X_EN: 1
; COMPUTE_PGM_RSRC2:TGID_Y_EN: 0
; COMPUTE_PGM_RSRC2:TGID_Z_EN: 0
; COMPUTE_PGM_RSRC2:TIDIG_COMP_CNT: 2
; COMPUTE_PGM_RSRC3_GFX90A:ACCUM_OFFSET: 1
; COMPUTE_PGM_RSRC3_GFX90A:TG_SPLIT: 0
	.section	.text._Z17shuffle_up_kernelILj64E12hip_bfloat16EvPT0_j,"axG",@progbits,_Z17shuffle_up_kernelILj64E12hip_bfloat16EvPT0_j,comdat
	.protected	_Z17shuffle_up_kernelILj64E12hip_bfloat16EvPT0_j ; -- Begin function _Z17shuffle_up_kernelILj64E12hip_bfloat16EvPT0_j
	.globl	_Z17shuffle_up_kernelILj64E12hip_bfloat16EvPT0_j
	.p2align	8
	.type	_Z17shuffle_up_kernelILj64E12hip_bfloat16EvPT0_j,@function
_Z17shuffle_up_kernelILj64E12hip_bfloat16EvPT0_j: ; @_Z17shuffle_up_kernelILj64E12hip_bfloat16EvPT0_j
; %bb.0:
	s_load_dword s2, s[4:5], 0x1c
	s_load_dwordx2 s[0:1], s[4:5], 0x0
	s_load_dword s3, s[4:5], 0x8
	v_mov_b32_e32 v1, 0
	v_mbcnt_lo_u32_b32 v3, -1, 0
	s_waitcnt lgkmcnt(0)
	s_and_b32 s2, s2, 0xffff
	s_mul_i32 s6, s6, s2
	v_add_u32_e32 v0, s6, v0
	v_lshlrev_b64 v[0:1], 1, v[0:1]
	v_mov_b32_e32 v2, s1
	v_add_co_u32_e32 v0, vcc, s0, v0
	v_addc_co_u32_e32 v1, vcc, v2, v1, vcc
	global_load_ushort v2, v[0:1], off
	v_mbcnt_hi_u32_b32 v3, -1, v3
	v_subrev_u32_e32 v4, s3, v3
	v_and_b32_e32 v5, 64, v3
	v_cmp_lt_i32_e32 vcc, v4, v5
	v_cndmask_b32_e32 v3, v4, v3, vcc
	v_lshlrev_b32_e32 v3, 2, v3
	s_waitcnt vmcnt(0)
	ds_bpermute_b32 v2, v3, v2
	s_waitcnt lgkmcnt(0)
	global_store_short v[0:1], v2, off
	s_endpgm
	.section	.rodata,"a",@progbits
	.p2align	6, 0x0
	.amdhsa_kernel _Z17shuffle_up_kernelILj64E12hip_bfloat16EvPT0_j
		.amdhsa_group_segment_fixed_size 0
		.amdhsa_private_segment_fixed_size 0
		.amdhsa_kernarg_size 272
		.amdhsa_user_sgpr_count 6
		.amdhsa_user_sgpr_private_segment_buffer 1
		.amdhsa_user_sgpr_dispatch_ptr 0
		.amdhsa_user_sgpr_queue_ptr 0
		.amdhsa_user_sgpr_kernarg_segment_ptr 1
		.amdhsa_user_sgpr_dispatch_id 0
		.amdhsa_user_sgpr_flat_scratch_init 0
		.amdhsa_user_sgpr_kernarg_preload_length 0
		.amdhsa_user_sgpr_kernarg_preload_offset 0
		.amdhsa_user_sgpr_private_segment_size 0
		.amdhsa_uses_dynamic_stack 0
		.amdhsa_system_sgpr_private_segment_wavefront_offset 0
		.amdhsa_system_sgpr_workgroup_id_x 1
		.amdhsa_system_sgpr_workgroup_id_y 0
		.amdhsa_system_sgpr_workgroup_id_z 0
		.amdhsa_system_sgpr_workgroup_info 0
		.amdhsa_system_vgpr_workitem_id 0
		.amdhsa_next_free_vgpr 6
		.amdhsa_next_free_sgpr 7
		.amdhsa_accum_offset 8
		.amdhsa_reserve_vcc 1
		.amdhsa_reserve_flat_scratch 0
		.amdhsa_float_round_mode_32 0
		.amdhsa_float_round_mode_16_64 0
		.amdhsa_float_denorm_mode_32 3
		.amdhsa_float_denorm_mode_16_64 3
		.amdhsa_dx10_clamp 1
		.amdhsa_ieee_mode 1
		.amdhsa_fp16_overflow 0
		.amdhsa_tg_split 0
		.amdhsa_exception_fp_ieee_invalid_op 0
		.amdhsa_exception_fp_denorm_src 0
		.amdhsa_exception_fp_ieee_div_zero 0
		.amdhsa_exception_fp_ieee_overflow 0
		.amdhsa_exception_fp_ieee_underflow 0
		.amdhsa_exception_fp_ieee_inexact 0
		.amdhsa_exception_int_div_zero 0
	.end_amdhsa_kernel
	.section	.text._Z17shuffle_up_kernelILj64E12hip_bfloat16EvPT0_j,"axG",@progbits,_Z17shuffle_up_kernelILj64E12hip_bfloat16EvPT0_j,comdat
.Lfunc_end1:
	.size	_Z17shuffle_up_kernelILj64E12hip_bfloat16EvPT0_j, .Lfunc_end1-_Z17shuffle_up_kernelILj64E12hip_bfloat16EvPT0_j
                                        ; -- End function
	.section	.AMDGPU.csdata,"",@progbits
; Kernel info:
; codeLenInByte = 140
; NumSgprs: 11
; NumVgprs: 6
; NumAgprs: 0
; TotalNumVgprs: 6
; ScratchSize: 0
; MemoryBound: 0
; FloatMode: 240
; IeeeMode: 1
; LDSByteSize: 0 bytes/workgroup (compile time only)
; SGPRBlocks: 1
; VGPRBlocks: 0
; NumSGPRsForWavesPerEU: 11
; NumVGPRsForWavesPerEU: 6
; AccumOffset: 8
; Occupancy: 8
; WaveLimiterHint : 0
; COMPUTE_PGM_RSRC2:SCRATCH_EN: 0
; COMPUTE_PGM_RSRC2:USER_SGPR: 6
; COMPUTE_PGM_RSRC2:TRAP_HANDLER: 0
; COMPUTE_PGM_RSRC2:TGID_X_EN: 1
; COMPUTE_PGM_RSRC2:TGID_Y_EN: 0
; COMPUTE_PGM_RSRC2:TGID_Z_EN: 0
; COMPUTE_PGM_RSRC2:TIDIG_COMP_CNT: 0
; COMPUTE_PGM_RSRC3_GFX90A:ACCUM_OFFSET: 1
; COMPUTE_PGM_RSRC3_GFX90A:TG_SPLIT: 0
	.section	.text._Z17shuffle_up_kernelILj64E6__halfEvPT0_j,"axG",@progbits,_Z17shuffle_up_kernelILj64E6__halfEvPT0_j,comdat
	.protected	_Z17shuffle_up_kernelILj64E6__halfEvPT0_j ; -- Begin function _Z17shuffle_up_kernelILj64E6__halfEvPT0_j
	.globl	_Z17shuffle_up_kernelILj64E6__halfEvPT0_j
	.p2align	8
	.type	_Z17shuffle_up_kernelILj64E6__halfEvPT0_j,@function
_Z17shuffle_up_kernelILj64E6__halfEvPT0_j: ; @_Z17shuffle_up_kernelILj64E6__halfEvPT0_j
; %bb.0:
	s_load_dword s2, s[4:5], 0x1c
	s_load_dwordx2 s[0:1], s[4:5], 0x0
	s_load_dword s3, s[4:5], 0x8
	v_mov_b32_e32 v1, 0
	v_mbcnt_lo_u32_b32 v3, -1, 0
	s_waitcnt lgkmcnt(0)
	s_and_b32 s2, s2, 0xffff
	s_mul_i32 s6, s6, s2
	v_add_u32_e32 v0, s6, v0
	v_lshlrev_b64 v[0:1], 1, v[0:1]
	v_mov_b32_e32 v2, s1
	v_add_co_u32_e32 v0, vcc, s0, v0
	v_addc_co_u32_e32 v1, vcc, v2, v1, vcc
	global_load_ushort v2, v[0:1], off
	v_mbcnt_hi_u32_b32 v3, -1, v3
	v_subrev_u32_e32 v4, s3, v3
	v_and_b32_e32 v5, 64, v3
	v_cmp_lt_i32_e32 vcc, v4, v5
	v_cndmask_b32_e32 v3, v4, v3, vcc
	v_lshlrev_b32_e32 v3, 2, v3
	s_waitcnt vmcnt(0)
	ds_bpermute_b32 v2, v3, v2
	s_waitcnt lgkmcnt(0)
	global_store_short v[0:1], v2, off
	s_endpgm
	.section	.rodata,"a",@progbits
	.p2align	6, 0x0
	.amdhsa_kernel _Z17shuffle_up_kernelILj64E6__halfEvPT0_j
		.amdhsa_group_segment_fixed_size 0
		.amdhsa_private_segment_fixed_size 0
		.amdhsa_kernarg_size 272
		.amdhsa_user_sgpr_count 6
		.amdhsa_user_sgpr_private_segment_buffer 1
		.amdhsa_user_sgpr_dispatch_ptr 0
		.amdhsa_user_sgpr_queue_ptr 0
		.amdhsa_user_sgpr_kernarg_segment_ptr 1
		.amdhsa_user_sgpr_dispatch_id 0
		.amdhsa_user_sgpr_flat_scratch_init 0
		.amdhsa_user_sgpr_kernarg_preload_length 0
		.amdhsa_user_sgpr_kernarg_preload_offset 0
		.amdhsa_user_sgpr_private_segment_size 0
		.amdhsa_uses_dynamic_stack 0
		.amdhsa_system_sgpr_private_segment_wavefront_offset 0
		.amdhsa_system_sgpr_workgroup_id_x 1
		.amdhsa_system_sgpr_workgroup_id_y 0
		.amdhsa_system_sgpr_workgroup_id_z 0
		.amdhsa_system_sgpr_workgroup_info 0
		.amdhsa_system_vgpr_workitem_id 0
		.amdhsa_next_free_vgpr 6
		.amdhsa_next_free_sgpr 7
		.amdhsa_accum_offset 8
		.amdhsa_reserve_vcc 1
		.amdhsa_reserve_flat_scratch 0
		.amdhsa_float_round_mode_32 0
		.amdhsa_float_round_mode_16_64 0
		.amdhsa_float_denorm_mode_32 3
		.amdhsa_float_denorm_mode_16_64 3
		.amdhsa_dx10_clamp 1
		.amdhsa_ieee_mode 1
		.amdhsa_fp16_overflow 0
		.amdhsa_tg_split 0
		.amdhsa_exception_fp_ieee_invalid_op 0
		.amdhsa_exception_fp_denorm_src 0
		.amdhsa_exception_fp_ieee_div_zero 0
		.amdhsa_exception_fp_ieee_overflow 0
		.amdhsa_exception_fp_ieee_underflow 0
		.amdhsa_exception_fp_ieee_inexact 0
		.amdhsa_exception_int_div_zero 0
	.end_amdhsa_kernel
	.section	.text._Z17shuffle_up_kernelILj64E6__halfEvPT0_j,"axG",@progbits,_Z17shuffle_up_kernelILj64E6__halfEvPT0_j,comdat
.Lfunc_end2:
	.size	_Z17shuffle_up_kernelILj64E6__halfEvPT0_j, .Lfunc_end2-_Z17shuffle_up_kernelILj64E6__halfEvPT0_j
                                        ; -- End function
	.section	.AMDGPU.csdata,"",@progbits
; Kernel info:
; codeLenInByte = 140
; NumSgprs: 11
; NumVgprs: 6
; NumAgprs: 0
; TotalNumVgprs: 6
; ScratchSize: 0
; MemoryBound: 0
; FloatMode: 240
; IeeeMode: 1
; LDSByteSize: 0 bytes/workgroup (compile time only)
; SGPRBlocks: 1
; VGPRBlocks: 0
; NumSGPRsForWavesPerEU: 11
; NumVGPRsForWavesPerEU: 6
; AccumOffset: 8
; Occupancy: 8
; WaveLimiterHint : 0
; COMPUTE_PGM_RSRC2:SCRATCH_EN: 0
; COMPUTE_PGM_RSRC2:USER_SGPR: 6
; COMPUTE_PGM_RSRC2:TRAP_HANDLER: 0
; COMPUTE_PGM_RSRC2:TGID_X_EN: 1
; COMPUTE_PGM_RSRC2:TGID_Y_EN: 0
; COMPUTE_PGM_RSRC2:TGID_Z_EN: 0
; COMPUTE_PGM_RSRC2:TIDIG_COMP_CNT: 0
; COMPUTE_PGM_RSRC3_GFX90A:ACCUM_OFFSET: 1
; COMPUTE_PGM_RSRC3_GFX90A:TG_SPLIT: 0
	.section	.text._Z17shuffle_up_kernelILj64EhEvPT0_j,"axG",@progbits,_Z17shuffle_up_kernelILj64EhEvPT0_j,comdat
	.protected	_Z17shuffle_up_kernelILj64EhEvPT0_j ; -- Begin function _Z17shuffle_up_kernelILj64EhEvPT0_j
	.globl	_Z17shuffle_up_kernelILj64EhEvPT0_j
	.p2align	8
	.type	_Z17shuffle_up_kernelILj64EhEvPT0_j,@function
_Z17shuffle_up_kernelILj64EhEvPT0_j:    ; @_Z17shuffle_up_kernelILj64EhEvPT0_j
; %bb.0:
	s_load_dword s2, s[4:5], 0x1c
	s_load_dwordx2 s[0:1], s[4:5], 0x0
	s_load_dword s3, s[4:5], 0x8
	v_mbcnt_lo_u32_b32 v2, -1, 0
	v_mbcnt_hi_u32_b32 v2, -1, v2
	s_waitcnt lgkmcnt(0)
	s_and_b32 s2, s2, 0xffff
	s_mul_i32 s6, s6, s2
	v_add_u32_e32 v0, s6, v0
	global_load_ubyte v1, v0, s[0:1]
	v_subrev_u32_e32 v3, s3, v2
	v_and_b32_e32 v4, 64, v2
	v_cmp_lt_i32_e32 vcc, v3, v4
	v_cndmask_b32_e32 v2, v3, v2, vcc
	v_lshlrev_b32_e32 v2, 2, v2
	s_waitcnt vmcnt(0)
	ds_bpermute_b32 v1, v2, v1
	s_waitcnt lgkmcnt(0)
	global_store_byte v0, v1, s[0:1]
	s_endpgm
	.section	.rodata,"a",@progbits
	.p2align	6, 0x0
	.amdhsa_kernel _Z17shuffle_up_kernelILj64EhEvPT0_j
		.amdhsa_group_segment_fixed_size 0
		.amdhsa_private_segment_fixed_size 0
		.amdhsa_kernarg_size 272
		.amdhsa_user_sgpr_count 6
		.amdhsa_user_sgpr_private_segment_buffer 1
		.amdhsa_user_sgpr_dispatch_ptr 0
		.amdhsa_user_sgpr_queue_ptr 0
		.amdhsa_user_sgpr_kernarg_segment_ptr 1
		.amdhsa_user_sgpr_dispatch_id 0
		.amdhsa_user_sgpr_flat_scratch_init 0
		.amdhsa_user_sgpr_kernarg_preload_length 0
		.amdhsa_user_sgpr_kernarg_preload_offset 0
		.amdhsa_user_sgpr_private_segment_size 0
		.amdhsa_uses_dynamic_stack 0
		.amdhsa_system_sgpr_private_segment_wavefront_offset 0
		.amdhsa_system_sgpr_workgroup_id_x 1
		.amdhsa_system_sgpr_workgroup_id_y 0
		.amdhsa_system_sgpr_workgroup_id_z 0
		.amdhsa_system_sgpr_workgroup_info 0
		.amdhsa_system_vgpr_workitem_id 0
		.amdhsa_next_free_vgpr 5
		.amdhsa_next_free_sgpr 7
		.amdhsa_accum_offset 8
		.amdhsa_reserve_vcc 1
		.amdhsa_reserve_flat_scratch 0
		.amdhsa_float_round_mode_32 0
		.amdhsa_float_round_mode_16_64 0
		.amdhsa_float_denorm_mode_32 3
		.amdhsa_float_denorm_mode_16_64 3
		.amdhsa_dx10_clamp 1
		.amdhsa_ieee_mode 1
		.amdhsa_fp16_overflow 0
		.amdhsa_tg_split 0
		.amdhsa_exception_fp_ieee_invalid_op 0
		.amdhsa_exception_fp_denorm_src 0
		.amdhsa_exception_fp_ieee_div_zero 0
		.amdhsa_exception_fp_ieee_overflow 0
		.amdhsa_exception_fp_ieee_underflow 0
		.amdhsa_exception_fp_ieee_inexact 0
		.amdhsa_exception_int_div_zero 0
	.end_amdhsa_kernel
	.section	.text._Z17shuffle_up_kernelILj64EhEvPT0_j,"axG",@progbits,_Z17shuffle_up_kernelILj64EhEvPT0_j,comdat
.Lfunc_end3:
	.size	_Z17shuffle_up_kernelILj64EhEvPT0_j, .Lfunc_end3-_Z17shuffle_up_kernelILj64EhEvPT0_j
                                        ; -- End function
	.section	.AMDGPU.csdata,"",@progbits
; Kernel info:
; codeLenInByte = 116
; NumSgprs: 11
; NumVgprs: 5
; NumAgprs: 0
; TotalNumVgprs: 5
; ScratchSize: 0
; MemoryBound: 0
; FloatMode: 240
; IeeeMode: 1
; LDSByteSize: 0 bytes/workgroup (compile time only)
; SGPRBlocks: 1
; VGPRBlocks: 0
; NumSGPRsForWavesPerEU: 11
; NumVGPRsForWavesPerEU: 5
; AccumOffset: 8
; Occupancy: 8
; WaveLimiterHint : 0
; COMPUTE_PGM_RSRC2:SCRATCH_EN: 0
; COMPUTE_PGM_RSRC2:USER_SGPR: 6
; COMPUTE_PGM_RSRC2:TRAP_HANDLER: 0
; COMPUTE_PGM_RSRC2:TGID_X_EN: 1
; COMPUTE_PGM_RSRC2:TGID_Y_EN: 0
; COMPUTE_PGM_RSRC2:TGID_Z_EN: 0
; COMPUTE_PGM_RSRC2:TIDIG_COMP_CNT: 0
; COMPUTE_PGM_RSRC3_GFX90A:ACCUM_OFFSET: 1
; COMPUTE_PGM_RSRC3_GFX90A:TG_SPLIT: 0
	.section	.text._Z17shuffle_up_kernelILj64EdEvPT0_j,"axG",@progbits,_Z17shuffle_up_kernelILj64EdEvPT0_j,comdat
	.protected	_Z17shuffle_up_kernelILj64EdEvPT0_j ; -- Begin function _Z17shuffle_up_kernelILj64EdEvPT0_j
	.globl	_Z17shuffle_up_kernelILj64EdEvPT0_j
	.p2align	8
	.type	_Z17shuffle_up_kernelILj64EdEvPT0_j,@function
_Z17shuffle_up_kernelILj64EdEvPT0_j:    ; @_Z17shuffle_up_kernelILj64EdEvPT0_j
; %bb.0:
	s_load_dword s2, s[4:5], 0x1c
	s_load_dwordx2 s[0:1], s[4:5], 0x0
	s_load_dword s3, s[4:5], 0x8
	v_mov_b32_e32 v1, 0
	v_mbcnt_lo_u32_b32 v4, -1, 0
	s_waitcnt lgkmcnt(0)
	s_and_b32 s2, s2, 0xffff
	s_mul_i32 s6, s6, s2
	v_add_u32_e32 v0, s6, v0
	v_lshlrev_b64 v[0:1], 3, v[0:1]
	v_mov_b32_e32 v2, s1
	v_add_co_u32_e32 v0, vcc, s0, v0
	v_addc_co_u32_e32 v1, vcc, v2, v1, vcc
	global_load_dwordx2 v[2:3], v[0:1], off
	v_mbcnt_hi_u32_b32 v4, -1, v4
	v_and_b32_e32 v5, 64, v4
	v_subrev_u32_e32 v6, s3, v4
	v_cmp_lt_i32_e32 vcc, v6, v5
	v_cndmask_b32_e32 v4, v6, v4, vcc
	v_lshlrev_b32_e32 v4, 2, v4
	s_waitcnt vmcnt(0)
	ds_bpermute_b32 v2, v4, v2
	ds_bpermute_b32 v3, v4, v3
	s_waitcnt lgkmcnt(0)
	global_store_dwordx2 v[0:1], v[2:3], off
	s_endpgm
	.section	.rodata,"a",@progbits
	.p2align	6, 0x0
	.amdhsa_kernel _Z17shuffle_up_kernelILj64EdEvPT0_j
		.amdhsa_group_segment_fixed_size 0
		.amdhsa_private_segment_fixed_size 0
		.amdhsa_kernarg_size 272
		.amdhsa_user_sgpr_count 6
		.amdhsa_user_sgpr_private_segment_buffer 1
		.amdhsa_user_sgpr_dispatch_ptr 0
		.amdhsa_user_sgpr_queue_ptr 0
		.amdhsa_user_sgpr_kernarg_segment_ptr 1
		.amdhsa_user_sgpr_dispatch_id 0
		.amdhsa_user_sgpr_flat_scratch_init 0
		.amdhsa_user_sgpr_kernarg_preload_length 0
		.amdhsa_user_sgpr_kernarg_preload_offset 0
		.amdhsa_user_sgpr_private_segment_size 0
		.amdhsa_uses_dynamic_stack 0
		.amdhsa_system_sgpr_private_segment_wavefront_offset 0
		.amdhsa_system_sgpr_workgroup_id_x 1
		.amdhsa_system_sgpr_workgroup_id_y 0
		.amdhsa_system_sgpr_workgroup_id_z 0
		.amdhsa_system_sgpr_workgroup_info 0
		.amdhsa_system_vgpr_workitem_id 0
		.amdhsa_next_free_vgpr 7
		.amdhsa_next_free_sgpr 7
		.amdhsa_accum_offset 8
		.amdhsa_reserve_vcc 1
		.amdhsa_reserve_flat_scratch 0
		.amdhsa_float_round_mode_32 0
		.amdhsa_float_round_mode_16_64 0
		.amdhsa_float_denorm_mode_32 3
		.amdhsa_float_denorm_mode_16_64 3
		.amdhsa_dx10_clamp 1
		.amdhsa_ieee_mode 1
		.amdhsa_fp16_overflow 0
		.amdhsa_tg_split 0
		.amdhsa_exception_fp_ieee_invalid_op 0
		.amdhsa_exception_fp_denorm_src 0
		.amdhsa_exception_fp_ieee_div_zero 0
		.amdhsa_exception_fp_ieee_overflow 0
		.amdhsa_exception_fp_ieee_underflow 0
		.amdhsa_exception_fp_ieee_inexact 0
		.amdhsa_exception_int_div_zero 0
	.end_amdhsa_kernel
	.section	.text._Z17shuffle_up_kernelILj64EdEvPT0_j,"axG",@progbits,_Z17shuffle_up_kernelILj64EdEvPT0_j,comdat
.Lfunc_end4:
	.size	_Z17shuffle_up_kernelILj64EdEvPT0_j, .Lfunc_end4-_Z17shuffle_up_kernelILj64EdEvPT0_j
                                        ; -- End function
	.section	.AMDGPU.csdata,"",@progbits
; Kernel info:
; codeLenInByte = 148
; NumSgprs: 11
; NumVgprs: 7
; NumAgprs: 0
; TotalNumVgprs: 7
; ScratchSize: 0
; MemoryBound: 0
; FloatMode: 240
; IeeeMode: 1
; LDSByteSize: 0 bytes/workgroup (compile time only)
; SGPRBlocks: 1
; VGPRBlocks: 0
; NumSGPRsForWavesPerEU: 11
; NumVGPRsForWavesPerEU: 7
; AccumOffset: 8
; Occupancy: 8
; WaveLimiterHint : 0
; COMPUTE_PGM_RSRC2:SCRATCH_EN: 0
; COMPUTE_PGM_RSRC2:USER_SGPR: 6
; COMPUTE_PGM_RSRC2:TRAP_HANDLER: 0
; COMPUTE_PGM_RSRC2:TGID_X_EN: 1
; COMPUTE_PGM_RSRC2:TGID_Y_EN: 0
; COMPUTE_PGM_RSRC2:TGID_Z_EN: 0
; COMPUTE_PGM_RSRC2:TIDIG_COMP_CNT: 0
; COMPUTE_PGM_RSRC3_GFX90A:ACCUM_OFFSET: 1
; COMPUTE_PGM_RSRC3_GFX90A:TG_SPLIT: 0
	.section	.text._Z17shuffle_up_kernelILj64EfEvPT0_j,"axG",@progbits,_Z17shuffle_up_kernelILj64EfEvPT0_j,comdat
	.protected	_Z17shuffle_up_kernelILj64EfEvPT0_j ; -- Begin function _Z17shuffle_up_kernelILj64EfEvPT0_j
	.globl	_Z17shuffle_up_kernelILj64EfEvPT0_j
	.p2align	8
	.type	_Z17shuffle_up_kernelILj64EfEvPT0_j,@function
_Z17shuffle_up_kernelILj64EfEvPT0_j:    ; @_Z17shuffle_up_kernelILj64EfEvPT0_j
; %bb.0:
	s_load_dword s2, s[4:5], 0x1c
	s_load_dwordx2 s[0:1], s[4:5], 0x0
	s_load_dword s3, s[4:5], 0x8
	v_mov_b32_e32 v1, 0
	v_mbcnt_lo_u32_b32 v3, -1, 0
	s_waitcnt lgkmcnt(0)
	s_and_b32 s2, s2, 0xffff
	s_mul_i32 s6, s6, s2
	v_add_u32_e32 v0, s6, v0
	v_lshlrev_b64 v[0:1], 2, v[0:1]
	v_mov_b32_e32 v2, s1
	v_add_co_u32_e32 v0, vcc, s0, v0
	v_addc_co_u32_e32 v1, vcc, v2, v1, vcc
	global_load_dword v2, v[0:1], off
	v_mbcnt_hi_u32_b32 v3, -1, v3
	v_subrev_u32_e32 v4, s3, v3
	v_and_b32_e32 v5, 64, v3
	v_cmp_lt_i32_e32 vcc, v4, v5
	v_cndmask_b32_e32 v3, v4, v3, vcc
	v_lshlrev_b32_e32 v3, 2, v3
	s_waitcnt vmcnt(0)
	ds_bpermute_b32 v2, v3, v2
	s_waitcnt lgkmcnt(0)
	global_store_dword v[0:1], v2, off
	s_endpgm
	.section	.rodata,"a",@progbits
	.p2align	6, 0x0
	.amdhsa_kernel _Z17shuffle_up_kernelILj64EfEvPT0_j
		.amdhsa_group_segment_fixed_size 0
		.amdhsa_private_segment_fixed_size 0
		.amdhsa_kernarg_size 272
		.amdhsa_user_sgpr_count 6
		.amdhsa_user_sgpr_private_segment_buffer 1
		.amdhsa_user_sgpr_dispatch_ptr 0
		.amdhsa_user_sgpr_queue_ptr 0
		.amdhsa_user_sgpr_kernarg_segment_ptr 1
		.amdhsa_user_sgpr_dispatch_id 0
		.amdhsa_user_sgpr_flat_scratch_init 0
		.amdhsa_user_sgpr_kernarg_preload_length 0
		.amdhsa_user_sgpr_kernarg_preload_offset 0
		.amdhsa_user_sgpr_private_segment_size 0
		.amdhsa_uses_dynamic_stack 0
		.amdhsa_system_sgpr_private_segment_wavefront_offset 0
		.amdhsa_system_sgpr_workgroup_id_x 1
		.amdhsa_system_sgpr_workgroup_id_y 0
		.amdhsa_system_sgpr_workgroup_id_z 0
		.amdhsa_system_sgpr_workgroup_info 0
		.amdhsa_system_vgpr_workitem_id 0
		.amdhsa_next_free_vgpr 6
		.amdhsa_next_free_sgpr 7
		.amdhsa_accum_offset 8
		.amdhsa_reserve_vcc 1
		.amdhsa_reserve_flat_scratch 0
		.amdhsa_float_round_mode_32 0
		.amdhsa_float_round_mode_16_64 0
		.amdhsa_float_denorm_mode_32 3
		.amdhsa_float_denorm_mode_16_64 3
		.amdhsa_dx10_clamp 1
		.amdhsa_ieee_mode 1
		.amdhsa_fp16_overflow 0
		.amdhsa_tg_split 0
		.amdhsa_exception_fp_ieee_invalid_op 0
		.amdhsa_exception_fp_denorm_src 0
		.amdhsa_exception_fp_ieee_div_zero 0
		.amdhsa_exception_fp_ieee_overflow 0
		.amdhsa_exception_fp_ieee_underflow 0
		.amdhsa_exception_fp_ieee_inexact 0
		.amdhsa_exception_int_div_zero 0
	.end_amdhsa_kernel
	.section	.text._Z17shuffle_up_kernelILj64EfEvPT0_j,"axG",@progbits,_Z17shuffle_up_kernelILj64EfEvPT0_j,comdat
.Lfunc_end5:
	.size	_Z17shuffle_up_kernelILj64EfEvPT0_j, .Lfunc_end5-_Z17shuffle_up_kernelILj64EfEvPT0_j
                                        ; -- End function
	.section	.AMDGPU.csdata,"",@progbits
; Kernel info:
; codeLenInByte = 140
; NumSgprs: 11
; NumVgprs: 6
; NumAgprs: 0
; TotalNumVgprs: 6
; ScratchSize: 0
; MemoryBound: 0
; FloatMode: 240
; IeeeMode: 1
; LDSByteSize: 0 bytes/workgroup (compile time only)
; SGPRBlocks: 1
; VGPRBlocks: 0
; NumSGPRsForWavesPerEU: 11
; NumVGPRsForWavesPerEU: 6
; AccumOffset: 8
; Occupancy: 8
; WaveLimiterHint : 0
; COMPUTE_PGM_RSRC2:SCRATCH_EN: 0
; COMPUTE_PGM_RSRC2:USER_SGPR: 6
; COMPUTE_PGM_RSRC2:TRAP_HANDLER: 0
; COMPUTE_PGM_RSRC2:TGID_X_EN: 1
; COMPUTE_PGM_RSRC2:TGID_Y_EN: 0
; COMPUTE_PGM_RSRC2:TGID_Z_EN: 0
; COMPUTE_PGM_RSRC2:TIDIG_COMP_CNT: 0
; COMPUTE_PGM_RSRC3_GFX90A:ACCUM_OFFSET: 1
; COMPUTE_PGM_RSRC3_GFX90A:TG_SPLIT: 0
	.section	.text._Z17shuffle_up_kernelILj32EhEvPT0_j,"axG",@progbits,_Z17shuffle_up_kernelILj32EhEvPT0_j,comdat
	.protected	_Z17shuffle_up_kernelILj32EhEvPT0_j ; -- Begin function _Z17shuffle_up_kernelILj32EhEvPT0_j
	.globl	_Z17shuffle_up_kernelILj32EhEvPT0_j
	.p2align	8
	.type	_Z17shuffle_up_kernelILj32EhEvPT0_j,@function
_Z17shuffle_up_kernelILj32EhEvPT0_j:    ; @_Z17shuffle_up_kernelILj32EhEvPT0_j
; %bb.0:
	s_load_dword s2, s[4:5], 0x1c
	s_load_dwordx2 s[0:1], s[4:5], 0x0
	s_load_dword s3, s[4:5], 0x8
	v_mbcnt_lo_u32_b32 v2, -1, 0
	v_mbcnt_hi_u32_b32 v2, -1, v2
	s_waitcnt lgkmcnt(0)
	s_and_b32 s2, s2, 0xffff
	s_mul_i32 s6, s6, s2
	v_add_u32_e32 v0, s6, v0
	global_load_ubyte v1, v0, s[0:1]
	v_subrev_u32_e32 v3, s3, v2
	v_and_b32_e32 v4, 0x60, v2
	v_cmp_lt_i32_e32 vcc, v3, v4
	v_cndmask_b32_e32 v2, v3, v2, vcc
	v_lshlrev_b32_e32 v2, 2, v2
	s_waitcnt vmcnt(0)
	ds_bpermute_b32 v1, v2, v1
	s_waitcnt lgkmcnt(0)
	global_store_byte v0, v1, s[0:1]
	s_endpgm
	.section	.rodata,"a",@progbits
	.p2align	6, 0x0
	.amdhsa_kernel _Z17shuffle_up_kernelILj32EhEvPT0_j
		.amdhsa_group_segment_fixed_size 0
		.amdhsa_private_segment_fixed_size 0
		.amdhsa_kernarg_size 272
		.amdhsa_user_sgpr_count 6
		.amdhsa_user_sgpr_private_segment_buffer 1
		.amdhsa_user_sgpr_dispatch_ptr 0
		.amdhsa_user_sgpr_queue_ptr 0
		.amdhsa_user_sgpr_kernarg_segment_ptr 1
		.amdhsa_user_sgpr_dispatch_id 0
		.amdhsa_user_sgpr_flat_scratch_init 0
		.amdhsa_user_sgpr_kernarg_preload_length 0
		.amdhsa_user_sgpr_kernarg_preload_offset 0
		.amdhsa_user_sgpr_private_segment_size 0
		.amdhsa_uses_dynamic_stack 0
		.amdhsa_system_sgpr_private_segment_wavefront_offset 0
		.amdhsa_system_sgpr_workgroup_id_x 1
		.amdhsa_system_sgpr_workgroup_id_y 0
		.amdhsa_system_sgpr_workgroup_id_z 0
		.amdhsa_system_sgpr_workgroup_info 0
		.amdhsa_system_vgpr_workitem_id 0
		.amdhsa_next_free_vgpr 5
		.amdhsa_next_free_sgpr 7
		.amdhsa_accum_offset 8
		.amdhsa_reserve_vcc 1
		.amdhsa_reserve_flat_scratch 0
		.amdhsa_float_round_mode_32 0
		.amdhsa_float_round_mode_16_64 0
		.amdhsa_float_denorm_mode_32 3
		.amdhsa_float_denorm_mode_16_64 3
		.amdhsa_dx10_clamp 1
		.amdhsa_ieee_mode 1
		.amdhsa_fp16_overflow 0
		.amdhsa_tg_split 0
		.amdhsa_exception_fp_ieee_invalid_op 0
		.amdhsa_exception_fp_denorm_src 0
		.amdhsa_exception_fp_ieee_div_zero 0
		.amdhsa_exception_fp_ieee_overflow 0
		.amdhsa_exception_fp_ieee_underflow 0
		.amdhsa_exception_fp_ieee_inexact 0
		.amdhsa_exception_int_div_zero 0
	.end_amdhsa_kernel
	.section	.text._Z17shuffle_up_kernelILj32EhEvPT0_j,"axG",@progbits,_Z17shuffle_up_kernelILj32EhEvPT0_j,comdat
.Lfunc_end6:
	.size	_Z17shuffle_up_kernelILj32EhEvPT0_j, .Lfunc_end6-_Z17shuffle_up_kernelILj32EhEvPT0_j
                                        ; -- End function
	.section	.AMDGPU.csdata,"",@progbits
; Kernel info:
; codeLenInByte = 120
; NumSgprs: 11
; NumVgprs: 5
; NumAgprs: 0
; TotalNumVgprs: 5
; ScratchSize: 0
; MemoryBound: 0
; FloatMode: 240
; IeeeMode: 1
; LDSByteSize: 0 bytes/workgroup (compile time only)
; SGPRBlocks: 1
; VGPRBlocks: 0
; NumSGPRsForWavesPerEU: 11
; NumVGPRsForWavesPerEU: 5
; AccumOffset: 8
; Occupancy: 8
; WaveLimiterHint : 0
; COMPUTE_PGM_RSRC2:SCRATCH_EN: 0
; COMPUTE_PGM_RSRC2:USER_SGPR: 6
; COMPUTE_PGM_RSRC2:TRAP_HANDLER: 0
; COMPUTE_PGM_RSRC2:TGID_X_EN: 1
; COMPUTE_PGM_RSRC2:TGID_Y_EN: 0
; COMPUTE_PGM_RSRC2:TGID_Z_EN: 0
; COMPUTE_PGM_RSRC2:TIDIG_COMP_CNT: 0
; COMPUTE_PGM_RSRC3_GFX90A:ACCUM_OFFSET: 1
; COMPUTE_PGM_RSRC3_GFX90A:TG_SPLIT: 0
	.section	.text._Z17shuffle_up_kernelILj32E12hip_bfloat16EvPT0_j,"axG",@progbits,_Z17shuffle_up_kernelILj32E12hip_bfloat16EvPT0_j,comdat
	.protected	_Z17shuffle_up_kernelILj32E12hip_bfloat16EvPT0_j ; -- Begin function _Z17shuffle_up_kernelILj32E12hip_bfloat16EvPT0_j
	.globl	_Z17shuffle_up_kernelILj32E12hip_bfloat16EvPT0_j
	.p2align	8
	.type	_Z17shuffle_up_kernelILj32E12hip_bfloat16EvPT0_j,@function
_Z17shuffle_up_kernelILj32E12hip_bfloat16EvPT0_j: ; @_Z17shuffle_up_kernelILj32E12hip_bfloat16EvPT0_j
; %bb.0:
	s_load_dword s2, s[4:5], 0x1c
	s_load_dwordx2 s[0:1], s[4:5], 0x0
	s_load_dword s3, s[4:5], 0x8
	v_mov_b32_e32 v1, 0
	v_mbcnt_lo_u32_b32 v3, -1, 0
	s_waitcnt lgkmcnt(0)
	s_and_b32 s2, s2, 0xffff
	s_mul_i32 s6, s6, s2
	v_add_u32_e32 v0, s6, v0
	v_lshlrev_b64 v[0:1], 1, v[0:1]
	v_mov_b32_e32 v2, s1
	v_add_co_u32_e32 v0, vcc, s0, v0
	v_addc_co_u32_e32 v1, vcc, v2, v1, vcc
	global_load_ushort v2, v[0:1], off
	v_mbcnt_hi_u32_b32 v3, -1, v3
	v_subrev_u32_e32 v4, s3, v3
	v_and_b32_e32 v5, 0x60, v3
	v_cmp_lt_i32_e32 vcc, v4, v5
	v_cndmask_b32_e32 v3, v4, v3, vcc
	v_lshlrev_b32_e32 v3, 2, v3
	s_waitcnt vmcnt(0)
	ds_bpermute_b32 v2, v3, v2
	s_waitcnt lgkmcnt(0)
	global_store_short v[0:1], v2, off
	s_endpgm
	.section	.rodata,"a",@progbits
	.p2align	6, 0x0
	.amdhsa_kernel _Z17shuffle_up_kernelILj32E12hip_bfloat16EvPT0_j
		.amdhsa_group_segment_fixed_size 0
		.amdhsa_private_segment_fixed_size 0
		.amdhsa_kernarg_size 272
		.amdhsa_user_sgpr_count 6
		.amdhsa_user_sgpr_private_segment_buffer 1
		.amdhsa_user_sgpr_dispatch_ptr 0
		.amdhsa_user_sgpr_queue_ptr 0
		.amdhsa_user_sgpr_kernarg_segment_ptr 1
		.amdhsa_user_sgpr_dispatch_id 0
		.amdhsa_user_sgpr_flat_scratch_init 0
		.amdhsa_user_sgpr_kernarg_preload_length 0
		.amdhsa_user_sgpr_kernarg_preload_offset 0
		.amdhsa_user_sgpr_private_segment_size 0
		.amdhsa_uses_dynamic_stack 0
		.amdhsa_system_sgpr_private_segment_wavefront_offset 0
		.amdhsa_system_sgpr_workgroup_id_x 1
		.amdhsa_system_sgpr_workgroup_id_y 0
		.amdhsa_system_sgpr_workgroup_id_z 0
		.amdhsa_system_sgpr_workgroup_info 0
		.amdhsa_system_vgpr_workitem_id 0
		.amdhsa_next_free_vgpr 6
		.amdhsa_next_free_sgpr 7
		.amdhsa_accum_offset 8
		.amdhsa_reserve_vcc 1
		.amdhsa_reserve_flat_scratch 0
		.amdhsa_float_round_mode_32 0
		.amdhsa_float_round_mode_16_64 0
		.amdhsa_float_denorm_mode_32 3
		.amdhsa_float_denorm_mode_16_64 3
		.amdhsa_dx10_clamp 1
		.amdhsa_ieee_mode 1
		.amdhsa_fp16_overflow 0
		.amdhsa_tg_split 0
		.amdhsa_exception_fp_ieee_invalid_op 0
		.amdhsa_exception_fp_denorm_src 0
		.amdhsa_exception_fp_ieee_div_zero 0
		.amdhsa_exception_fp_ieee_overflow 0
		.amdhsa_exception_fp_ieee_underflow 0
		.amdhsa_exception_fp_ieee_inexact 0
		.amdhsa_exception_int_div_zero 0
	.end_amdhsa_kernel
	.section	.text._Z17shuffle_up_kernelILj32E12hip_bfloat16EvPT0_j,"axG",@progbits,_Z17shuffle_up_kernelILj32E12hip_bfloat16EvPT0_j,comdat
.Lfunc_end7:
	.size	_Z17shuffle_up_kernelILj32E12hip_bfloat16EvPT0_j, .Lfunc_end7-_Z17shuffle_up_kernelILj32E12hip_bfloat16EvPT0_j
                                        ; -- End function
	.section	.AMDGPU.csdata,"",@progbits
; Kernel info:
; codeLenInByte = 144
; NumSgprs: 11
; NumVgprs: 6
; NumAgprs: 0
; TotalNumVgprs: 6
; ScratchSize: 0
; MemoryBound: 0
; FloatMode: 240
; IeeeMode: 1
; LDSByteSize: 0 bytes/workgroup (compile time only)
; SGPRBlocks: 1
; VGPRBlocks: 0
; NumSGPRsForWavesPerEU: 11
; NumVGPRsForWavesPerEU: 6
; AccumOffset: 8
; Occupancy: 8
; WaveLimiterHint : 0
; COMPUTE_PGM_RSRC2:SCRATCH_EN: 0
; COMPUTE_PGM_RSRC2:USER_SGPR: 6
; COMPUTE_PGM_RSRC2:TRAP_HANDLER: 0
; COMPUTE_PGM_RSRC2:TGID_X_EN: 1
; COMPUTE_PGM_RSRC2:TGID_Y_EN: 0
; COMPUTE_PGM_RSRC2:TGID_Z_EN: 0
; COMPUTE_PGM_RSRC2:TIDIG_COMP_CNT: 0
; COMPUTE_PGM_RSRC3_GFX90A:ACCUM_OFFSET: 1
; COMPUTE_PGM_RSRC3_GFX90A:TG_SPLIT: 0
	.section	.text._Z17shuffle_up_kernelILj32E6__halfEvPT0_j,"axG",@progbits,_Z17shuffle_up_kernelILj32E6__halfEvPT0_j,comdat
	.protected	_Z17shuffle_up_kernelILj32E6__halfEvPT0_j ; -- Begin function _Z17shuffle_up_kernelILj32E6__halfEvPT0_j
	.globl	_Z17shuffle_up_kernelILj32E6__halfEvPT0_j
	.p2align	8
	.type	_Z17shuffle_up_kernelILj32E6__halfEvPT0_j,@function
_Z17shuffle_up_kernelILj32E6__halfEvPT0_j: ; @_Z17shuffle_up_kernelILj32E6__halfEvPT0_j
; %bb.0:
	s_load_dword s2, s[4:5], 0x1c
	s_load_dwordx2 s[0:1], s[4:5], 0x0
	s_load_dword s3, s[4:5], 0x8
	v_mov_b32_e32 v1, 0
	v_mbcnt_lo_u32_b32 v3, -1, 0
	s_waitcnt lgkmcnt(0)
	s_and_b32 s2, s2, 0xffff
	s_mul_i32 s6, s6, s2
	v_add_u32_e32 v0, s6, v0
	v_lshlrev_b64 v[0:1], 1, v[0:1]
	v_mov_b32_e32 v2, s1
	v_add_co_u32_e32 v0, vcc, s0, v0
	v_addc_co_u32_e32 v1, vcc, v2, v1, vcc
	global_load_ushort v2, v[0:1], off
	v_mbcnt_hi_u32_b32 v3, -1, v3
	v_subrev_u32_e32 v4, s3, v3
	v_and_b32_e32 v5, 0x60, v3
	v_cmp_lt_i32_e32 vcc, v4, v5
	v_cndmask_b32_e32 v3, v4, v3, vcc
	v_lshlrev_b32_e32 v3, 2, v3
	s_waitcnt vmcnt(0)
	ds_bpermute_b32 v2, v3, v2
	s_waitcnt lgkmcnt(0)
	global_store_short v[0:1], v2, off
	s_endpgm
	.section	.rodata,"a",@progbits
	.p2align	6, 0x0
	.amdhsa_kernel _Z17shuffle_up_kernelILj32E6__halfEvPT0_j
		.amdhsa_group_segment_fixed_size 0
		.amdhsa_private_segment_fixed_size 0
		.amdhsa_kernarg_size 272
		.amdhsa_user_sgpr_count 6
		.amdhsa_user_sgpr_private_segment_buffer 1
		.amdhsa_user_sgpr_dispatch_ptr 0
		.amdhsa_user_sgpr_queue_ptr 0
		.amdhsa_user_sgpr_kernarg_segment_ptr 1
		.amdhsa_user_sgpr_dispatch_id 0
		.amdhsa_user_sgpr_flat_scratch_init 0
		.amdhsa_user_sgpr_kernarg_preload_length 0
		.amdhsa_user_sgpr_kernarg_preload_offset 0
		.amdhsa_user_sgpr_private_segment_size 0
		.amdhsa_uses_dynamic_stack 0
		.amdhsa_system_sgpr_private_segment_wavefront_offset 0
		.amdhsa_system_sgpr_workgroup_id_x 1
		.amdhsa_system_sgpr_workgroup_id_y 0
		.amdhsa_system_sgpr_workgroup_id_z 0
		.amdhsa_system_sgpr_workgroup_info 0
		.amdhsa_system_vgpr_workitem_id 0
		.amdhsa_next_free_vgpr 6
		.amdhsa_next_free_sgpr 7
		.amdhsa_accum_offset 8
		.amdhsa_reserve_vcc 1
		.amdhsa_reserve_flat_scratch 0
		.amdhsa_float_round_mode_32 0
		.amdhsa_float_round_mode_16_64 0
		.amdhsa_float_denorm_mode_32 3
		.amdhsa_float_denorm_mode_16_64 3
		.amdhsa_dx10_clamp 1
		.amdhsa_ieee_mode 1
		.amdhsa_fp16_overflow 0
		.amdhsa_tg_split 0
		.amdhsa_exception_fp_ieee_invalid_op 0
		.amdhsa_exception_fp_denorm_src 0
		.amdhsa_exception_fp_ieee_div_zero 0
		.amdhsa_exception_fp_ieee_overflow 0
		.amdhsa_exception_fp_ieee_underflow 0
		.amdhsa_exception_fp_ieee_inexact 0
		.amdhsa_exception_int_div_zero 0
	.end_amdhsa_kernel
	.section	.text._Z17shuffle_up_kernelILj32E6__halfEvPT0_j,"axG",@progbits,_Z17shuffle_up_kernelILj32E6__halfEvPT0_j,comdat
.Lfunc_end8:
	.size	_Z17shuffle_up_kernelILj32E6__halfEvPT0_j, .Lfunc_end8-_Z17shuffle_up_kernelILj32E6__halfEvPT0_j
                                        ; -- End function
	.section	.AMDGPU.csdata,"",@progbits
; Kernel info:
; codeLenInByte = 144
; NumSgprs: 11
; NumVgprs: 6
; NumAgprs: 0
; TotalNumVgprs: 6
; ScratchSize: 0
; MemoryBound: 0
; FloatMode: 240
; IeeeMode: 1
; LDSByteSize: 0 bytes/workgroup (compile time only)
; SGPRBlocks: 1
; VGPRBlocks: 0
; NumSGPRsForWavesPerEU: 11
; NumVGPRsForWavesPerEU: 6
; AccumOffset: 8
; Occupancy: 8
; WaveLimiterHint : 0
; COMPUTE_PGM_RSRC2:SCRATCH_EN: 0
; COMPUTE_PGM_RSRC2:USER_SGPR: 6
; COMPUTE_PGM_RSRC2:TRAP_HANDLER: 0
; COMPUTE_PGM_RSRC2:TGID_X_EN: 1
; COMPUTE_PGM_RSRC2:TGID_Y_EN: 0
; COMPUTE_PGM_RSRC2:TGID_Z_EN: 0
; COMPUTE_PGM_RSRC2:TIDIG_COMP_CNT: 0
; COMPUTE_PGM_RSRC3_GFX90A:ACCUM_OFFSET: 1
; COMPUTE_PGM_RSRC3_GFX90A:TG_SPLIT: 0
	.section	.text._Z17shuffle_up_kernelILj32EdEvPT0_j,"axG",@progbits,_Z17shuffle_up_kernelILj32EdEvPT0_j,comdat
	.protected	_Z17shuffle_up_kernelILj32EdEvPT0_j ; -- Begin function _Z17shuffle_up_kernelILj32EdEvPT0_j
	.globl	_Z17shuffle_up_kernelILj32EdEvPT0_j
	.p2align	8
	.type	_Z17shuffle_up_kernelILj32EdEvPT0_j,@function
_Z17shuffle_up_kernelILj32EdEvPT0_j:    ; @_Z17shuffle_up_kernelILj32EdEvPT0_j
; %bb.0:
	s_load_dword s2, s[4:5], 0x1c
	s_load_dwordx2 s[0:1], s[4:5], 0x0
	s_load_dword s3, s[4:5], 0x8
	v_mov_b32_e32 v1, 0
	v_mbcnt_lo_u32_b32 v4, -1, 0
	s_waitcnt lgkmcnt(0)
	s_and_b32 s2, s2, 0xffff
	s_mul_i32 s6, s6, s2
	v_add_u32_e32 v0, s6, v0
	v_lshlrev_b64 v[0:1], 3, v[0:1]
	v_mov_b32_e32 v2, s1
	v_add_co_u32_e32 v0, vcc, s0, v0
	v_addc_co_u32_e32 v1, vcc, v2, v1, vcc
	global_load_dwordx2 v[2:3], v[0:1], off
	v_mbcnt_hi_u32_b32 v4, -1, v4
	v_and_b32_e32 v5, 0x60, v4
	v_subrev_u32_e32 v6, s3, v4
	v_cmp_lt_i32_e32 vcc, v6, v5
	v_cndmask_b32_e32 v4, v6, v4, vcc
	v_lshlrev_b32_e32 v4, 2, v4
	s_waitcnt vmcnt(0)
	ds_bpermute_b32 v2, v4, v2
	ds_bpermute_b32 v3, v4, v3
	s_waitcnt lgkmcnt(0)
	global_store_dwordx2 v[0:1], v[2:3], off
	s_endpgm
	.section	.rodata,"a",@progbits
	.p2align	6, 0x0
	.amdhsa_kernel _Z17shuffle_up_kernelILj32EdEvPT0_j
		.amdhsa_group_segment_fixed_size 0
		.amdhsa_private_segment_fixed_size 0
		.amdhsa_kernarg_size 272
		.amdhsa_user_sgpr_count 6
		.amdhsa_user_sgpr_private_segment_buffer 1
		.amdhsa_user_sgpr_dispatch_ptr 0
		.amdhsa_user_sgpr_queue_ptr 0
		.amdhsa_user_sgpr_kernarg_segment_ptr 1
		.amdhsa_user_sgpr_dispatch_id 0
		.amdhsa_user_sgpr_flat_scratch_init 0
		.amdhsa_user_sgpr_kernarg_preload_length 0
		.amdhsa_user_sgpr_kernarg_preload_offset 0
		.amdhsa_user_sgpr_private_segment_size 0
		.amdhsa_uses_dynamic_stack 0
		.amdhsa_system_sgpr_private_segment_wavefront_offset 0
		.amdhsa_system_sgpr_workgroup_id_x 1
		.amdhsa_system_sgpr_workgroup_id_y 0
		.amdhsa_system_sgpr_workgroup_id_z 0
		.amdhsa_system_sgpr_workgroup_info 0
		.amdhsa_system_vgpr_workitem_id 0
		.amdhsa_next_free_vgpr 7
		.amdhsa_next_free_sgpr 7
		.amdhsa_accum_offset 8
		.amdhsa_reserve_vcc 1
		.amdhsa_reserve_flat_scratch 0
		.amdhsa_float_round_mode_32 0
		.amdhsa_float_round_mode_16_64 0
		.amdhsa_float_denorm_mode_32 3
		.amdhsa_float_denorm_mode_16_64 3
		.amdhsa_dx10_clamp 1
		.amdhsa_ieee_mode 1
		.amdhsa_fp16_overflow 0
		.amdhsa_tg_split 0
		.amdhsa_exception_fp_ieee_invalid_op 0
		.amdhsa_exception_fp_denorm_src 0
		.amdhsa_exception_fp_ieee_div_zero 0
		.amdhsa_exception_fp_ieee_overflow 0
		.amdhsa_exception_fp_ieee_underflow 0
		.amdhsa_exception_fp_ieee_inexact 0
		.amdhsa_exception_int_div_zero 0
	.end_amdhsa_kernel
	.section	.text._Z17shuffle_up_kernelILj32EdEvPT0_j,"axG",@progbits,_Z17shuffle_up_kernelILj32EdEvPT0_j,comdat
.Lfunc_end9:
	.size	_Z17shuffle_up_kernelILj32EdEvPT0_j, .Lfunc_end9-_Z17shuffle_up_kernelILj32EdEvPT0_j
                                        ; -- End function
	.section	.AMDGPU.csdata,"",@progbits
; Kernel info:
; codeLenInByte = 152
; NumSgprs: 11
; NumVgprs: 7
; NumAgprs: 0
; TotalNumVgprs: 7
; ScratchSize: 0
; MemoryBound: 0
; FloatMode: 240
; IeeeMode: 1
; LDSByteSize: 0 bytes/workgroup (compile time only)
; SGPRBlocks: 1
; VGPRBlocks: 0
; NumSGPRsForWavesPerEU: 11
; NumVGPRsForWavesPerEU: 7
; AccumOffset: 8
; Occupancy: 8
; WaveLimiterHint : 0
; COMPUTE_PGM_RSRC2:SCRATCH_EN: 0
; COMPUTE_PGM_RSRC2:USER_SGPR: 6
; COMPUTE_PGM_RSRC2:TRAP_HANDLER: 0
; COMPUTE_PGM_RSRC2:TGID_X_EN: 1
; COMPUTE_PGM_RSRC2:TGID_Y_EN: 0
; COMPUTE_PGM_RSRC2:TGID_Z_EN: 0
; COMPUTE_PGM_RSRC2:TIDIG_COMP_CNT: 0
; COMPUTE_PGM_RSRC3_GFX90A:ACCUM_OFFSET: 1
; COMPUTE_PGM_RSRC3_GFX90A:TG_SPLIT: 0
	.section	.text._Z17shuffle_up_kernelILj32EfEvPT0_j,"axG",@progbits,_Z17shuffle_up_kernelILj32EfEvPT0_j,comdat
	.protected	_Z17shuffle_up_kernelILj32EfEvPT0_j ; -- Begin function _Z17shuffle_up_kernelILj32EfEvPT0_j
	.globl	_Z17shuffle_up_kernelILj32EfEvPT0_j
	.p2align	8
	.type	_Z17shuffle_up_kernelILj32EfEvPT0_j,@function
_Z17shuffle_up_kernelILj32EfEvPT0_j:    ; @_Z17shuffle_up_kernelILj32EfEvPT0_j
; %bb.0:
	s_load_dword s2, s[4:5], 0x1c
	s_load_dwordx2 s[0:1], s[4:5], 0x0
	s_load_dword s3, s[4:5], 0x8
	v_mov_b32_e32 v1, 0
	v_mbcnt_lo_u32_b32 v3, -1, 0
	s_waitcnt lgkmcnt(0)
	s_and_b32 s2, s2, 0xffff
	s_mul_i32 s6, s6, s2
	v_add_u32_e32 v0, s6, v0
	v_lshlrev_b64 v[0:1], 2, v[0:1]
	v_mov_b32_e32 v2, s1
	v_add_co_u32_e32 v0, vcc, s0, v0
	v_addc_co_u32_e32 v1, vcc, v2, v1, vcc
	global_load_dword v2, v[0:1], off
	v_mbcnt_hi_u32_b32 v3, -1, v3
	v_subrev_u32_e32 v4, s3, v3
	v_and_b32_e32 v5, 0x60, v3
	v_cmp_lt_i32_e32 vcc, v4, v5
	v_cndmask_b32_e32 v3, v4, v3, vcc
	v_lshlrev_b32_e32 v3, 2, v3
	s_waitcnt vmcnt(0)
	ds_bpermute_b32 v2, v3, v2
	s_waitcnt lgkmcnt(0)
	global_store_dword v[0:1], v2, off
	s_endpgm
	.section	.rodata,"a",@progbits
	.p2align	6, 0x0
	.amdhsa_kernel _Z17shuffle_up_kernelILj32EfEvPT0_j
		.amdhsa_group_segment_fixed_size 0
		.amdhsa_private_segment_fixed_size 0
		.amdhsa_kernarg_size 272
		.amdhsa_user_sgpr_count 6
		.amdhsa_user_sgpr_private_segment_buffer 1
		.amdhsa_user_sgpr_dispatch_ptr 0
		.amdhsa_user_sgpr_queue_ptr 0
		.amdhsa_user_sgpr_kernarg_segment_ptr 1
		.amdhsa_user_sgpr_dispatch_id 0
		.amdhsa_user_sgpr_flat_scratch_init 0
		.amdhsa_user_sgpr_kernarg_preload_length 0
		.amdhsa_user_sgpr_kernarg_preload_offset 0
		.amdhsa_user_sgpr_private_segment_size 0
		.amdhsa_uses_dynamic_stack 0
		.amdhsa_system_sgpr_private_segment_wavefront_offset 0
		.amdhsa_system_sgpr_workgroup_id_x 1
		.amdhsa_system_sgpr_workgroup_id_y 0
		.amdhsa_system_sgpr_workgroup_id_z 0
		.amdhsa_system_sgpr_workgroup_info 0
		.amdhsa_system_vgpr_workitem_id 0
		.amdhsa_next_free_vgpr 6
		.amdhsa_next_free_sgpr 7
		.amdhsa_accum_offset 8
		.amdhsa_reserve_vcc 1
		.amdhsa_reserve_flat_scratch 0
		.amdhsa_float_round_mode_32 0
		.amdhsa_float_round_mode_16_64 0
		.amdhsa_float_denorm_mode_32 3
		.amdhsa_float_denorm_mode_16_64 3
		.amdhsa_dx10_clamp 1
		.amdhsa_ieee_mode 1
		.amdhsa_fp16_overflow 0
		.amdhsa_tg_split 0
		.amdhsa_exception_fp_ieee_invalid_op 0
		.amdhsa_exception_fp_denorm_src 0
		.amdhsa_exception_fp_ieee_div_zero 0
		.amdhsa_exception_fp_ieee_overflow 0
		.amdhsa_exception_fp_ieee_underflow 0
		.amdhsa_exception_fp_ieee_inexact 0
		.amdhsa_exception_int_div_zero 0
	.end_amdhsa_kernel
	.section	.text._Z17shuffle_up_kernelILj32EfEvPT0_j,"axG",@progbits,_Z17shuffle_up_kernelILj32EfEvPT0_j,comdat
.Lfunc_end10:
	.size	_Z17shuffle_up_kernelILj32EfEvPT0_j, .Lfunc_end10-_Z17shuffle_up_kernelILj32EfEvPT0_j
                                        ; -- End function
	.section	.AMDGPU.csdata,"",@progbits
; Kernel info:
; codeLenInByte = 144
; NumSgprs: 11
; NumVgprs: 6
; NumAgprs: 0
; TotalNumVgprs: 6
; ScratchSize: 0
; MemoryBound: 0
; FloatMode: 240
; IeeeMode: 1
; LDSByteSize: 0 bytes/workgroup (compile time only)
; SGPRBlocks: 1
; VGPRBlocks: 0
; NumSGPRsForWavesPerEU: 11
; NumVGPRsForWavesPerEU: 6
; AccumOffset: 8
; Occupancy: 8
; WaveLimiterHint : 0
; COMPUTE_PGM_RSRC2:SCRATCH_EN: 0
; COMPUTE_PGM_RSRC2:USER_SGPR: 6
; COMPUTE_PGM_RSRC2:TRAP_HANDLER: 0
; COMPUTE_PGM_RSRC2:TGID_X_EN: 1
; COMPUTE_PGM_RSRC2:TGID_Y_EN: 0
; COMPUTE_PGM_RSRC2:TGID_Z_EN: 0
; COMPUTE_PGM_RSRC2:TIDIG_COMP_CNT: 0
; COMPUTE_PGM_RSRC3_GFX90A:ACCUM_OFFSET: 1
; COMPUTE_PGM_RSRC3_GFX90A:TG_SPLIT: 0
	.section	.text._Z17shuffle_up_kernelILj2EiEvPT0_j,"axG",@progbits,_Z17shuffle_up_kernelILj2EiEvPT0_j,comdat
	.protected	_Z17shuffle_up_kernelILj2EiEvPT0_j ; -- Begin function _Z17shuffle_up_kernelILj2EiEvPT0_j
	.globl	_Z17shuffle_up_kernelILj2EiEvPT0_j
	.p2align	8
	.type	_Z17shuffle_up_kernelILj2EiEvPT0_j,@function
_Z17shuffle_up_kernelILj2EiEvPT0_j:     ; @_Z17shuffle_up_kernelILj2EiEvPT0_j
; %bb.0:
	s_load_dword s2, s[4:5], 0x1c
	s_load_dwordx2 s[0:1], s[4:5], 0x0
	s_load_dword s3, s[4:5], 0x8
	v_mov_b32_e32 v1, 0
	v_mbcnt_lo_u32_b32 v3, -1, 0
	s_waitcnt lgkmcnt(0)
	s_and_b32 s2, s2, 0xffff
	s_mul_i32 s6, s6, s2
	v_add_u32_e32 v0, s6, v0
	v_lshlrev_b64 v[0:1], 2, v[0:1]
	v_mov_b32_e32 v2, s1
	v_add_co_u32_e32 v0, vcc, s0, v0
	v_addc_co_u32_e32 v1, vcc, v2, v1, vcc
	global_load_dword v2, v[0:1], off
	v_mbcnt_hi_u32_b32 v3, -1, v3
	v_subrev_u32_e32 v4, s3, v3
	v_and_b32_e32 v5, 0x7e, v3
	v_cmp_lt_i32_e32 vcc, v4, v5
	v_cndmask_b32_e32 v3, v4, v3, vcc
	v_lshlrev_b32_e32 v3, 2, v3
	s_waitcnt vmcnt(0)
	ds_bpermute_b32 v2, v3, v2
	s_waitcnt lgkmcnt(0)
	global_store_dword v[0:1], v2, off
	s_endpgm
	.section	.rodata,"a",@progbits
	.p2align	6, 0x0
	.amdhsa_kernel _Z17shuffle_up_kernelILj2EiEvPT0_j
		.amdhsa_group_segment_fixed_size 0
		.amdhsa_private_segment_fixed_size 0
		.amdhsa_kernarg_size 272
		.amdhsa_user_sgpr_count 6
		.amdhsa_user_sgpr_private_segment_buffer 1
		.amdhsa_user_sgpr_dispatch_ptr 0
		.amdhsa_user_sgpr_queue_ptr 0
		.amdhsa_user_sgpr_kernarg_segment_ptr 1
		.amdhsa_user_sgpr_dispatch_id 0
		.amdhsa_user_sgpr_flat_scratch_init 0
		.amdhsa_user_sgpr_kernarg_preload_length 0
		.amdhsa_user_sgpr_kernarg_preload_offset 0
		.amdhsa_user_sgpr_private_segment_size 0
		.amdhsa_uses_dynamic_stack 0
		.amdhsa_system_sgpr_private_segment_wavefront_offset 0
		.amdhsa_system_sgpr_workgroup_id_x 1
		.amdhsa_system_sgpr_workgroup_id_y 0
		.amdhsa_system_sgpr_workgroup_id_z 0
		.amdhsa_system_sgpr_workgroup_info 0
		.amdhsa_system_vgpr_workitem_id 0
		.amdhsa_next_free_vgpr 6
		.amdhsa_next_free_sgpr 7
		.amdhsa_accum_offset 8
		.amdhsa_reserve_vcc 1
		.amdhsa_reserve_flat_scratch 0
		.amdhsa_float_round_mode_32 0
		.amdhsa_float_round_mode_16_64 0
		.amdhsa_float_denorm_mode_32 3
		.amdhsa_float_denorm_mode_16_64 3
		.amdhsa_dx10_clamp 1
		.amdhsa_ieee_mode 1
		.amdhsa_fp16_overflow 0
		.amdhsa_tg_split 0
		.amdhsa_exception_fp_ieee_invalid_op 0
		.amdhsa_exception_fp_denorm_src 0
		.amdhsa_exception_fp_ieee_div_zero 0
		.amdhsa_exception_fp_ieee_overflow 0
		.amdhsa_exception_fp_ieee_underflow 0
		.amdhsa_exception_fp_ieee_inexact 0
		.amdhsa_exception_int_div_zero 0
	.end_amdhsa_kernel
	.section	.text._Z17shuffle_up_kernelILj2EiEvPT0_j,"axG",@progbits,_Z17shuffle_up_kernelILj2EiEvPT0_j,comdat
.Lfunc_end11:
	.size	_Z17shuffle_up_kernelILj2EiEvPT0_j, .Lfunc_end11-_Z17shuffle_up_kernelILj2EiEvPT0_j
                                        ; -- End function
	.section	.AMDGPU.csdata,"",@progbits
; Kernel info:
; codeLenInByte = 144
; NumSgprs: 11
; NumVgprs: 6
; NumAgprs: 0
; TotalNumVgprs: 6
; ScratchSize: 0
; MemoryBound: 0
; FloatMode: 240
; IeeeMode: 1
; LDSByteSize: 0 bytes/workgroup (compile time only)
; SGPRBlocks: 1
; VGPRBlocks: 0
; NumSGPRsForWavesPerEU: 11
; NumVGPRsForWavesPerEU: 6
; AccumOffset: 8
; Occupancy: 8
; WaveLimiterHint : 0
; COMPUTE_PGM_RSRC2:SCRATCH_EN: 0
; COMPUTE_PGM_RSRC2:USER_SGPR: 6
; COMPUTE_PGM_RSRC2:TRAP_HANDLER: 0
; COMPUTE_PGM_RSRC2:TGID_X_EN: 1
; COMPUTE_PGM_RSRC2:TGID_Y_EN: 0
; COMPUTE_PGM_RSRC2:TGID_Z_EN: 0
; COMPUTE_PGM_RSRC2:TIDIG_COMP_CNT: 0
; COMPUTE_PGM_RSRC3_GFX90A:ACCUM_OFFSET: 1
; COMPUTE_PGM_RSRC3_GFX90A:TG_SPLIT: 0
	.section	.text._Z17shuffle_up_kernelILj4EiEvPT0_j,"axG",@progbits,_Z17shuffle_up_kernelILj4EiEvPT0_j,comdat
	.protected	_Z17shuffle_up_kernelILj4EiEvPT0_j ; -- Begin function _Z17shuffle_up_kernelILj4EiEvPT0_j
	.globl	_Z17shuffle_up_kernelILj4EiEvPT0_j
	.p2align	8
	.type	_Z17shuffle_up_kernelILj4EiEvPT0_j,@function
_Z17shuffle_up_kernelILj4EiEvPT0_j:     ; @_Z17shuffle_up_kernelILj4EiEvPT0_j
; %bb.0:
	s_load_dword s2, s[4:5], 0x1c
	s_load_dwordx2 s[0:1], s[4:5], 0x0
	s_load_dword s3, s[4:5], 0x8
	v_mov_b32_e32 v1, 0
	v_mbcnt_lo_u32_b32 v3, -1, 0
	s_waitcnt lgkmcnt(0)
	s_and_b32 s2, s2, 0xffff
	s_mul_i32 s6, s6, s2
	v_add_u32_e32 v0, s6, v0
	v_lshlrev_b64 v[0:1], 2, v[0:1]
	v_mov_b32_e32 v2, s1
	v_add_co_u32_e32 v0, vcc, s0, v0
	v_addc_co_u32_e32 v1, vcc, v2, v1, vcc
	global_load_dword v2, v[0:1], off
	v_mbcnt_hi_u32_b32 v3, -1, v3
	v_subrev_u32_e32 v4, s3, v3
	v_and_b32_e32 v5, 0x7c, v3
	v_cmp_lt_i32_e32 vcc, v4, v5
	v_cndmask_b32_e32 v3, v4, v3, vcc
	v_lshlrev_b32_e32 v3, 2, v3
	s_waitcnt vmcnt(0)
	ds_bpermute_b32 v2, v3, v2
	s_waitcnt lgkmcnt(0)
	global_store_dword v[0:1], v2, off
	s_endpgm
	.section	.rodata,"a",@progbits
	.p2align	6, 0x0
	.amdhsa_kernel _Z17shuffle_up_kernelILj4EiEvPT0_j
		.amdhsa_group_segment_fixed_size 0
		.amdhsa_private_segment_fixed_size 0
		.amdhsa_kernarg_size 272
		.amdhsa_user_sgpr_count 6
		.amdhsa_user_sgpr_private_segment_buffer 1
		.amdhsa_user_sgpr_dispatch_ptr 0
		.amdhsa_user_sgpr_queue_ptr 0
		.amdhsa_user_sgpr_kernarg_segment_ptr 1
		.amdhsa_user_sgpr_dispatch_id 0
		.amdhsa_user_sgpr_flat_scratch_init 0
		.amdhsa_user_sgpr_kernarg_preload_length 0
		.amdhsa_user_sgpr_kernarg_preload_offset 0
		.amdhsa_user_sgpr_private_segment_size 0
		.amdhsa_uses_dynamic_stack 0
		.amdhsa_system_sgpr_private_segment_wavefront_offset 0
		.amdhsa_system_sgpr_workgroup_id_x 1
		.amdhsa_system_sgpr_workgroup_id_y 0
		.amdhsa_system_sgpr_workgroup_id_z 0
		.amdhsa_system_sgpr_workgroup_info 0
		.amdhsa_system_vgpr_workitem_id 0
		.amdhsa_next_free_vgpr 6
		.amdhsa_next_free_sgpr 7
		.amdhsa_accum_offset 8
		.amdhsa_reserve_vcc 1
		.amdhsa_reserve_flat_scratch 0
		.amdhsa_float_round_mode_32 0
		.amdhsa_float_round_mode_16_64 0
		.amdhsa_float_denorm_mode_32 3
		.amdhsa_float_denorm_mode_16_64 3
		.amdhsa_dx10_clamp 1
		.amdhsa_ieee_mode 1
		.amdhsa_fp16_overflow 0
		.amdhsa_tg_split 0
		.amdhsa_exception_fp_ieee_invalid_op 0
		.amdhsa_exception_fp_denorm_src 0
		.amdhsa_exception_fp_ieee_div_zero 0
		.amdhsa_exception_fp_ieee_overflow 0
		.amdhsa_exception_fp_ieee_underflow 0
		.amdhsa_exception_fp_ieee_inexact 0
		.amdhsa_exception_int_div_zero 0
	.end_amdhsa_kernel
	.section	.text._Z17shuffle_up_kernelILj4EiEvPT0_j,"axG",@progbits,_Z17shuffle_up_kernelILj4EiEvPT0_j,comdat
.Lfunc_end12:
	.size	_Z17shuffle_up_kernelILj4EiEvPT0_j, .Lfunc_end12-_Z17shuffle_up_kernelILj4EiEvPT0_j
                                        ; -- End function
	.section	.AMDGPU.csdata,"",@progbits
; Kernel info:
; codeLenInByte = 144
; NumSgprs: 11
; NumVgprs: 6
; NumAgprs: 0
; TotalNumVgprs: 6
; ScratchSize: 0
; MemoryBound: 0
; FloatMode: 240
; IeeeMode: 1
; LDSByteSize: 0 bytes/workgroup (compile time only)
; SGPRBlocks: 1
; VGPRBlocks: 0
; NumSGPRsForWavesPerEU: 11
; NumVGPRsForWavesPerEU: 6
; AccumOffset: 8
; Occupancy: 8
; WaveLimiterHint : 0
; COMPUTE_PGM_RSRC2:SCRATCH_EN: 0
; COMPUTE_PGM_RSRC2:USER_SGPR: 6
; COMPUTE_PGM_RSRC2:TRAP_HANDLER: 0
; COMPUTE_PGM_RSRC2:TGID_X_EN: 1
; COMPUTE_PGM_RSRC2:TGID_Y_EN: 0
; COMPUTE_PGM_RSRC2:TGID_Z_EN: 0
; COMPUTE_PGM_RSRC2:TIDIG_COMP_CNT: 0
; COMPUTE_PGM_RSRC3_GFX90A:ACCUM_OFFSET: 1
; COMPUTE_PGM_RSRC3_GFX90A:TG_SPLIT: 0
	.section	.text._Z17shuffle_up_kernelILj8EiEvPT0_j,"axG",@progbits,_Z17shuffle_up_kernelILj8EiEvPT0_j,comdat
	.protected	_Z17shuffle_up_kernelILj8EiEvPT0_j ; -- Begin function _Z17shuffle_up_kernelILj8EiEvPT0_j
	.globl	_Z17shuffle_up_kernelILj8EiEvPT0_j
	.p2align	8
	.type	_Z17shuffle_up_kernelILj8EiEvPT0_j,@function
_Z17shuffle_up_kernelILj8EiEvPT0_j:     ; @_Z17shuffle_up_kernelILj8EiEvPT0_j
; %bb.0:
	s_load_dword s2, s[4:5], 0x1c
	s_load_dwordx2 s[0:1], s[4:5], 0x0
	s_load_dword s3, s[4:5], 0x8
	v_mov_b32_e32 v1, 0
	v_mbcnt_lo_u32_b32 v3, -1, 0
	s_waitcnt lgkmcnt(0)
	s_and_b32 s2, s2, 0xffff
	s_mul_i32 s6, s6, s2
	v_add_u32_e32 v0, s6, v0
	v_lshlrev_b64 v[0:1], 2, v[0:1]
	v_mov_b32_e32 v2, s1
	v_add_co_u32_e32 v0, vcc, s0, v0
	v_addc_co_u32_e32 v1, vcc, v2, v1, vcc
	global_load_dword v2, v[0:1], off
	v_mbcnt_hi_u32_b32 v3, -1, v3
	v_subrev_u32_e32 v4, s3, v3
	v_and_b32_e32 v5, 0x78, v3
	v_cmp_lt_i32_e32 vcc, v4, v5
	v_cndmask_b32_e32 v3, v4, v3, vcc
	v_lshlrev_b32_e32 v3, 2, v3
	s_waitcnt vmcnt(0)
	ds_bpermute_b32 v2, v3, v2
	s_waitcnt lgkmcnt(0)
	global_store_dword v[0:1], v2, off
	s_endpgm
	.section	.rodata,"a",@progbits
	.p2align	6, 0x0
	.amdhsa_kernel _Z17shuffle_up_kernelILj8EiEvPT0_j
		.amdhsa_group_segment_fixed_size 0
		.amdhsa_private_segment_fixed_size 0
		.amdhsa_kernarg_size 272
		.amdhsa_user_sgpr_count 6
		.amdhsa_user_sgpr_private_segment_buffer 1
		.amdhsa_user_sgpr_dispatch_ptr 0
		.amdhsa_user_sgpr_queue_ptr 0
		.amdhsa_user_sgpr_kernarg_segment_ptr 1
		.amdhsa_user_sgpr_dispatch_id 0
		.amdhsa_user_sgpr_flat_scratch_init 0
		.amdhsa_user_sgpr_kernarg_preload_length 0
		.amdhsa_user_sgpr_kernarg_preload_offset 0
		.amdhsa_user_sgpr_private_segment_size 0
		.amdhsa_uses_dynamic_stack 0
		.amdhsa_system_sgpr_private_segment_wavefront_offset 0
		.amdhsa_system_sgpr_workgroup_id_x 1
		.amdhsa_system_sgpr_workgroup_id_y 0
		.amdhsa_system_sgpr_workgroup_id_z 0
		.amdhsa_system_sgpr_workgroup_info 0
		.amdhsa_system_vgpr_workitem_id 0
		.amdhsa_next_free_vgpr 6
		.amdhsa_next_free_sgpr 7
		.amdhsa_accum_offset 8
		.amdhsa_reserve_vcc 1
		.amdhsa_reserve_flat_scratch 0
		.amdhsa_float_round_mode_32 0
		.amdhsa_float_round_mode_16_64 0
		.amdhsa_float_denorm_mode_32 3
		.amdhsa_float_denorm_mode_16_64 3
		.amdhsa_dx10_clamp 1
		.amdhsa_ieee_mode 1
		.amdhsa_fp16_overflow 0
		.amdhsa_tg_split 0
		.amdhsa_exception_fp_ieee_invalid_op 0
		.amdhsa_exception_fp_denorm_src 0
		.amdhsa_exception_fp_ieee_div_zero 0
		.amdhsa_exception_fp_ieee_overflow 0
		.amdhsa_exception_fp_ieee_underflow 0
		.amdhsa_exception_fp_ieee_inexact 0
		.amdhsa_exception_int_div_zero 0
	.end_amdhsa_kernel
	.section	.text._Z17shuffle_up_kernelILj8EiEvPT0_j,"axG",@progbits,_Z17shuffle_up_kernelILj8EiEvPT0_j,comdat
.Lfunc_end13:
	.size	_Z17shuffle_up_kernelILj8EiEvPT0_j, .Lfunc_end13-_Z17shuffle_up_kernelILj8EiEvPT0_j
                                        ; -- End function
	.section	.AMDGPU.csdata,"",@progbits
; Kernel info:
; codeLenInByte = 144
; NumSgprs: 11
; NumVgprs: 6
; NumAgprs: 0
; TotalNumVgprs: 6
; ScratchSize: 0
; MemoryBound: 0
; FloatMode: 240
; IeeeMode: 1
; LDSByteSize: 0 bytes/workgroup (compile time only)
; SGPRBlocks: 1
; VGPRBlocks: 0
; NumSGPRsForWavesPerEU: 11
; NumVGPRsForWavesPerEU: 6
; AccumOffset: 8
; Occupancy: 8
; WaveLimiterHint : 0
; COMPUTE_PGM_RSRC2:SCRATCH_EN: 0
; COMPUTE_PGM_RSRC2:USER_SGPR: 6
; COMPUTE_PGM_RSRC2:TRAP_HANDLER: 0
; COMPUTE_PGM_RSRC2:TGID_X_EN: 1
; COMPUTE_PGM_RSRC2:TGID_Y_EN: 0
; COMPUTE_PGM_RSRC2:TGID_Z_EN: 0
; COMPUTE_PGM_RSRC2:TIDIG_COMP_CNT: 0
; COMPUTE_PGM_RSRC3_GFX90A:ACCUM_OFFSET: 1
; COMPUTE_PGM_RSRC3_GFX90A:TG_SPLIT: 0
	.section	.text._Z17shuffle_up_kernelILj16EiEvPT0_j,"axG",@progbits,_Z17shuffle_up_kernelILj16EiEvPT0_j,comdat
	.protected	_Z17shuffle_up_kernelILj16EiEvPT0_j ; -- Begin function _Z17shuffle_up_kernelILj16EiEvPT0_j
	.globl	_Z17shuffle_up_kernelILj16EiEvPT0_j
	.p2align	8
	.type	_Z17shuffle_up_kernelILj16EiEvPT0_j,@function
_Z17shuffle_up_kernelILj16EiEvPT0_j:    ; @_Z17shuffle_up_kernelILj16EiEvPT0_j
; %bb.0:
	s_load_dword s2, s[4:5], 0x1c
	s_load_dwordx2 s[0:1], s[4:5], 0x0
	s_load_dword s3, s[4:5], 0x8
	v_mov_b32_e32 v1, 0
	v_mbcnt_lo_u32_b32 v3, -1, 0
	s_waitcnt lgkmcnt(0)
	s_and_b32 s2, s2, 0xffff
	s_mul_i32 s6, s6, s2
	v_add_u32_e32 v0, s6, v0
	v_lshlrev_b64 v[0:1], 2, v[0:1]
	v_mov_b32_e32 v2, s1
	v_add_co_u32_e32 v0, vcc, s0, v0
	v_addc_co_u32_e32 v1, vcc, v2, v1, vcc
	global_load_dword v2, v[0:1], off
	v_mbcnt_hi_u32_b32 v3, -1, v3
	v_subrev_u32_e32 v4, s3, v3
	v_and_b32_e32 v5, 0x70, v3
	v_cmp_lt_i32_e32 vcc, v4, v5
	v_cndmask_b32_e32 v3, v4, v3, vcc
	v_lshlrev_b32_e32 v3, 2, v3
	s_waitcnt vmcnt(0)
	ds_bpermute_b32 v2, v3, v2
	s_waitcnt lgkmcnt(0)
	global_store_dword v[0:1], v2, off
	s_endpgm
	.section	.rodata,"a",@progbits
	.p2align	6, 0x0
	.amdhsa_kernel _Z17shuffle_up_kernelILj16EiEvPT0_j
		.amdhsa_group_segment_fixed_size 0
		.amdhsa_private_segment_fixed_size 0
		.amdhsa_kernarg_size 272
		.amdhsa_user_sgpr_count 6
		.amdhsa_user_sgpr_private_segment_buffer 1
		.amdhsa_user_sgpr_dispatch_ptr 0
		.amdhsa_user_sgpr_queue_ptr 0
		.amdhsa_user_sgpr_kernarg_segment_ptr 1
		.amdhsa_user_sgpr_dispatch_id 0
		.amdhsa_user_sgpr_flat_scratch_init 0
		.amdhsa_user_sgpr_kernarg_preload_length 0
		.amdhsa_user_sgpr_kernarg_preload_offset 0
		.amdhsa_user_sgpr_private_segment_size 0
		.amdhsa_uses_dynamic_stack 0
		.amdhsa_system_sgpr_private_segment_wavefront_offset 0
		.amdhsa_system_sgpr_workgroup_id_x 1
		.amdhsa_system_sgpr_workgroup_id_y 0
		.amdhsa_system_sgpr_workgroup_id_z 0
		.amdhsa_system_sgpr_workgroup_info 0
		.amdhsa_system_vgpr_workitem_id 0
		.amdhsa_next_free_vgpr 6
		.amdhsa_next_free_sgpr 7
		.amdhsa_accum_offset 8
		.amdhsa_reserve_vcc 1
		.amdhsa_reserve_flat_scratch 0
		.amdhsa_float_round_mode_32 0
		.amdhsa_float_round_mode_16_64 0
		.amdhsa_float_denorm_mode_32 3
		.amdhsa_float_denorm_mode_16_64 3
		.amdhsa_dx10_clamp 1
		.amdhsa_ieee_mode 1
		.amdhsa_fp16_overflow 0
		.amdhsa_tg_split 0
		.amdhsa_exception_fp_ieee_invalid_op 0
		.amdhsa_exception_fp_denorm_src 0
		.amdhsa_exception_fp_ieee_div_zero 0
		.amdhsa_exception_fp_ieee_overflow 0
		.amdhsa_exception_fp_ieee_underflow 0
		.amdhsa_exception_fp_ieee_inexact 0
		.amdhsa_exception_int_div_zero 0
	.end_amdhsa_kernel
	.section	.text._Z17shuffle_up_kernelILj16EiEvPT0_j,"axG",@progbits,_Z17shuffle_up_kernelILj16EiEvPT0_j,comdat
.Lfunc_end14:
	.size	_Z17shuffle_up_kernelILj16EiEvPT0_j, .Lfunc_end14-_Z17shuffle_up_kernelILj16EiEvPT0_j
                                        ; -- End function
	.section	.AMDGPU.csdata,"",@progbits
; Kernel info:
; codeLenInByte = 144
; NumSgprs: 11
; NumVgprs: 6
; NumAgprs: 0
; TotalNumVgprs: 6
; ScratchSize: 0
; MemoryBound: 0
; FloatMode: 240
; IeeeMode: 1
; LDSByteSize: 0 bytes/workgroup (compile time only)
; SGPRBlocks: 1
; VGPRBlocks: 0
; NumSGPRsForWavesPerEU: 11
; NumVGPRsForWavesPerEU: 6
; AccumOffset: 8
; Occupancy: 8
; WaveLimiterHint : 0
; COMPUTE_PGM_RSRC2:SCRATCH_EN: 0
; COMPUTE_PGM_RSRC2:USER_SGPR: 6
; COMPUTE_PGM_RSRC2:TRAP_HANDLER: 0
; COMPUTE_PGM_RSRC2:TGID_X_EN: 1
; COMPUTE_PGM_RSRC2:TGID_Y_EN: 0
; COMPUTE_PGM_RSRC2:TGID_Z_EN: 0
; COMPUTE_PGM_RSRC2:TIDIG_COMP_CNT: 0
; COMPUTE_PGM_RSRC3_GFX90A:ACCUM_OFFSET: 1
; COMPUTE_PGM_RSRC3_GFX90A:TG_SPLIT: 0
	.section	.text._Z17shuffle_up_kernelILj32EiEvPT0_j,"axG",@progbits,_Z17shuffle_up_kernelILj32EiEvPT0_j,comdat
	.protected	_Z17shuffle_up_kernelILj32EiEvPT0_j ; -- Begin function _Z17shuffle_up_kernelILj32EiEvPT0_j
	.globl	_Z17shuffle_up_kernelILj32EiEvPT0_j
	.p2align	8
	.type	_Z17shuffle_up_kernelILj32EiEvPT0_j,@function
_Z17shuffle_up_kernelILj32EiEvPT0_j:    ; @_Z17shuffle_up_kernelILj32EiEvPT0_j
; %bb.0:
	s_load_dword s2, s[4:5], 0x1c
	s_load_dwordx2 s[0:1], s[4:5], 0x0
	s_load_dword s3, s[4:5], 0x8
	v_mov_b32_e32 v1, 0
	v_mbcnt_lo_u32_b32 v3, -1, 0
	s_waitcnt lgkmcnt(0)
	s_and_b32 s2, s2, 0xffff
	s_mul_i32 s6, s6, s2
	v_add_u32_e32 v0, s6, v0
	v_lshlrev_b64 v[0:1], 2, v[0:1]
	v_mov_b32_e32 v2, s1
	v_add_co_u32_e32 v0, vcc, s0, v0
	v_addc_co_u32_e32 v1, vcc, v2, v1, vcc
	global_load_dword v2, v[0:1], off
	v_mbcnt_hi_u32_b32 v3, -1, v3
	v_subrev_u32_e32 v4, s3, v3
	v_and_b32_e32 v5, 0x60, v3
	v_cmp_lt_i32_e32 vcc, v4, v5
	v_cndmask_b32_e32 v3, v4, v3, vcc
	v_lshlrev_b32_e32 v3, 2, v3
	s_waitcnt vmcnt(0)
	ds_bpermute_b32 v2, v3, v2
	s_waitcnt lgkmcnt(0)
	global_store_dword v[0:1], v2, off
	s_endpgm
	.section	.rodata,"a",@progbits
	.p2align	6, 0x0
	.amdhsa_kernel _Z17shuffle_up_kernelILj32EiEvPT0_j
		.amdhsa_group_segment_fixed_size 0
		.amdhsa_private_segment_fixed_size 0
		.amdhsa_kernarg_size 272
		.amdhsa_user_sgpr_count 6
		.amdhsa_user_sgpr_private_segment_buffer 1
		.amdhsa_user_sgpr_dispatch_ptr 0
		.amdhsa_user_sgpr_queue_ptr 0
		.amdhsa_user_sgpr_kernarg_segment_ptr 1
		.amdhsa_user_sgpr_dispatch_id 0
		.amdhsa_user_sgpr_flat_scratch_init 0
		.amdhsa_user_sgpr_kernarg_preload_length 0
		.amdhsa_user_sgpr_kernarg_preload_offset 0
		.amdhsa_user_sgpr_private_segment_size 0
		.amdhsa_uses_dynamic_stack 0
		.amdhsa_system_sgpr_private_segment_wavefront_offset 0
		.amdhsa_system_sgpr_workgroup_id_x 1
		.amdhsa_system_sgpr_workgroup_id_y 0
		.amdhsa_system_sgpr_workgroup_id_z 0
		.amdhsa_system_sgpr_workgroup_info 0
		.amdhsa_system_vgpr_workitem_id 0
		.amdhsa_next_free_vgpr 6
		.amdhsa_next_free_sgpr 7
		.amdhsa_accum_offset 8
		.amdhsa_reserve_vcc 1
		.amdhsa_reserve_flat_scratch 0
		.amdhsa_float_round_mode_32 0
		.amdhsa_float_round_mode_16_64 0
		.amdhsa_float_denorm_mode_32 3
		.amdhsa_float_denorm_mode_16_64 3
		.amdhsa_dx10_clamp 1
		.amdhsa_ieee_mode 1
		.amdhsa_fp16_overflow 0
		.amdhsa_tg_split 0
		.amdhsa_exception_fp_ieee_invalid_op 0
		.amdhsa_exception_fp_denorm_src 0
		.amdhsa_exception_fp_ieee_div_zero 0
		.amdhsa_exception_fp_ieee_overflow 0
		.amdhsa_exception_fp_ieee_underflow 0
		.amdhsa_exception_fp_ieee_inexact 0
		.amdhsa_exception_int_div_zero 0
	.end_amdhsa_kernel
	.section	.text._Z17shuffle_up_kernelILj32EiEvPT0_j,"axG",@progbits,_Z17shuffle_up_kernelILj32EiEvPT0_j,comdat
.Lfunc_end15:
	.size	_Z17shuffle_up_kernelILj32EiEvPT0_j, .Lfunc_end15-_Z17shuffle_up_kernelILj32EiEvPT0_j
                                        ; -- End function
	.section	.AMDGPU.csdata,"",@progbits
; Kernel info:
; codeLenInByte = 144
; NumSgprs: 11
; NumVgprs: 6
; NumAgprs: 0
; TotalNumVgprs: 6
; ScratchSize: 0
; MemoryBound: 0
; FloatMode: 240
; IeeeMode: 1
; LDSByteSize: 0 bytes/workgroup (compile time only)
; SGPRBlocks: 1
; VGPRBlocks: 0
; NumSGPRsForWavesPerEU: 11
; NumVGPRsForWavesPerEU: 6
; AccumOffset: 8
; Occupancy: 8
; WaveLimiterHint : 0
; COMPUTE_PGM_RSRC2:SCRATCH_EN: 0
; COMPUTE_PGM_RSRC2:USER_SGPR: 6
; COMPUTE_PGM_RSRC2:TRAP_HANDLER: 0
; COMPUTE_PGM_RSRC2:TGID_X_EN: 1
; COMPUTE_PGM_RSRC2:TGID_Y_EN: 0
; COMPUTE_PGM_RSRC2:TGID_Z_EN: 0
; COMPUTE_PGM_RSRC2:TIDIG_COMP_CNT: 0
; COMPUTE_PGM_RSRC3_GFX90A:ACCUM_OFFSET: 1
; COMPUTE_PGM_RSRC3_GFX90A:TG_SPLIT: 0
	.section	.text._Z19shuffle_down_kernelILj64E12hip_bfloat16EvPT0_j,"axG",@progbits,_Z19shuffle_down_kernelILj64E12hip_bfloat16EvPT0_j,comdat
	.protected	_Z19shuffle_down_kernelILj64E12hip_bfloat16EvPT0_j ; -- Begin function _Z19shuffle_down_kernelILj64E12hip_bfloat16EvPT0_j
	.globl	_Z19shuffle_down_kernelILj64E12hip_bfloat16EvPT0_j
	.p2align	8
	.type	_Z19shuffle_down_kernelILj64E12hip_bfloat16EvPT0_j,@function
_Z19shuffle_down_kernelILj64E12hip_bfloat16EvPT0_j: ; @_Z19shuffle_down_kernelILj64E12hip_bfloat16EvPT0_j
; %bb.0:
	s_load_dword s2, s[4:5], 0x1c
	s_load_dwordx2 s[0:1], s[4:5], 0x0
	s_load_dword s3, s[4:5], 0x8
	v_mov_b32_e32 v1, 0
	v_mbcnt_lo_u32_b32 v3, -1, 0
	s_waitcnt lgkmcnt(0)
	s_and_b32 s2, s2, 0xffff
	s_mul_i32 s6, s6, s2
	v_add_u32_e32 v0, s6, v0
	v_lshlrev_b64 v[0:1], 1, v[0:1]
	v_mov_b32_e32 v2, s1
	v_add_co_u32_e32 v0, vcc, s0, v0
	v_addc_co_u32_e32 v1, vcc, v2, v1, vcc
	global_load_ushort v2, v[0:1], off
	v_mbcnt_hi_u32_b32 v3, -1, v3
	v_and_b32_e32 v4, 63, v3
	v_add_u32_e32 v4, s3, v4
	v_mov_b32_e32 v5, s3
	v_cmp_gt_i32_e32 vcc, 64, v4
	v_cndmask_b32_e32 v4, 0, v5, vcc
	v_add_lshl_u32 v3, v4, v3, 2
	s_waitcnt vmcnt(0)
	ds_bpermute_b32 v2, v3, v2
	s_waitcnt lgkmcnt(0)
	global_store_short v[0:1], v2, off
	s_endpgm
	.section	.rodata,"a",@progbits
	.p2align	6, 0x0
	.amdhsa_kernel _Z19shuffle_down_kernelILj64E12hip_bfloat16EvPT0_j
		.amdhsa_group_segment_fixed_size 0
		.amdhsa_private_segment_fixed_size 0
		.amdhsa_kernarg_size 272
		.amdhsa_user_sgpr_count 6
		.amdhsa_user_sgpr_private_segment_buffer 1
		.amdhsa_user_sgpr_dispatch_ptr 0
		.amdhsa_user_sgpr_queue_ptr 0
		.amdhsa_user_sgpr_kernarg_segment_ptr 1
		.amdhsa_user_sgpr_dispatch_id 0
		.amdhsa_user_sgpr_flat_scratch_init 0
		.amdhsa_user_sgpr_kernarg_preload_length 0
		.amdhsa_user_sgpr_kernarg_preload_offset 0
		.amdhsa_user_sgpr_private_segment_size 0
		.amdhsa_uses_dynamic_stack 0
		.amdhsa_system_sgpr_private_segment_wavefront_offset 0
		.amdhsa_system_sgpr_workgroup_id_x 1
		.amdhsa_system_sgpr_workgroup_id_y 0
		.amdhsa_system_sgpr_workgroup_id_z 0
		.amdhsa_system_sgpr_workgroup_info 0
		.amdhsa_system_vgpr_workitem_id 0
		.amdhsa_next_free_vgpr 6
		.amdhsa_next_free_sgpr 7
		.amdhsa_accum_offset 8
		.amdhsa_reserve_vcc 1
		.amdhsa_reserve_flat_scratch 0
		.amdhsa_float_round_mode_32 0
		.amdhsa_float_round_mode_16_64 0
		.amdhsa_float_denorm_mode_32 3
		.amdhsa_float_denorm_mode_16_64 3
		.amdhsa_dx10_clamp 1
		.amdhsa_ieee_mode 1
		.amdhsa_fp16_overflow 0
		.amdhsa_tg_split 0
		.amdhsa_exception_fp_ieee_invalid_op 0
		.amdhsa_exception_fp_denorm_src 0
		.amdhsa_exception_fp_ieee_div_zero 0
		.amdhsa_exception_fp_ieee_overflow 0
		.amdhsa_exception_fp_ieee_underflow 0
		.amdhsa_exception_fp_ieee_inexact 0
		.amdhsa_exception_int_div_zero 0
	.end_amdhsa_kernel
	.section	.text._Z19shuffle_down_kernelILj64E12hip_bfloat16EvPT0_j,"axG",@progbits,_Z19shuffle_down_kernelILj64E12hip_bfloat16EvPT0_j,comdat
.Lfunc_end16:
	.size	_Z19shuffle_down_kernelILj64E12hip_bfloat16EvPT0_j, .Lfunc_end16-_Z19shuffle_down_kernelILj64E12hip_bfloat16EvPT0_j
                                        ; -- End function
	.section	.AMDGPU.csdata,"",@progbits
; Kernel info:
; codeLenInByte = 148
; NumSgprs: 11
; NumVgprs: 6
; NumAgprs: 0
; TotalNumVgprs: 6
; ScratchSize: 0
; MemoryBound: 0
; FloatMode: 240
; IeeeMode: 1
; LDSByteSize: 0 bytes/workgroup (compile time only)
; SGPRBlocks: 1
; VGPRBlocks: 0
; NumSGPRsForWavesPerEU: 11
; NumVGPRsForWavesPerEU: 6
; AccumOffset: 8
; Occupancy: 8
; WaveLimiterHint : 0
; COMPUTE_PGM_RSRC2:SCRATCH_EN: 0
; COMPUTE_PGM_RSRC2:USER_SGPR: 6
; COMPUTE_PGM_RSRC2:TRAP_HANDLER: 0
; COMPUTE_PGM_RSRC2:TGID_X_EN: 1
; COMPUTE_PGM_RSRC2:TGID_Y_EN: 0
; COMPUTE_PGM_RSRC2:TGID_Z_EN: 0
; COMPUTE_PGM_RSRC2:TIDIG_COMP_CNT: 0
; COMPUTE_PGM_RSRC3_GFX90A:ACCUM_OFFSET: 1
; COMPUTE_PGM_RSRC3_GFX90A:TG_SPLIT: 0
	.section	.text._Z19shuffle_down_kernelILj64E6__halfEvPT0_j,"axG",@progbits,_Z19shuffle_down_kernelILj64E6__halfEvPT0_j,comdat
	.protected	_Z19shuffle_down_kernelILj64E6__halfEvPT0_j ; -- Begin function _Z19shuffle_down_kernelILj64E6__halfEvPT0_j
	.globl	_Z19shuffle_down_kernelILj64E6__halfEvPT0_j
	.p2align	8
	.type	_Z19shuffle_down_kernelILj64E6__halfEvPT0_j,@function
_Z19shuffle_down_kernelILj64E6__halfEvPT0_j: ; @_Z19shuffle_down_kernelILj64E6__halfEvPT0_j
; %bb.0:
	s_load_dword s2, s[4:5], 0x1c
	s_load_dwordx2 s[0:1], s[4:5], 0x0
	s_load_dword s3, s[4:5], 0x8
	v_mov_b32_e32 v1, 0
	v_mbcnt_lo_u32_b32 v3, -1, 0
	s_waitcnt lgkmcnt(0)
	s_and_b32 s2, s2, 0xffff
	s_mul_i32 s6, s6, s2
	v_add_u32_e32 v0, s6, v0
	v_lshlrev_b64 v[0:1], 1, v[0:1]
	v_mov_b32_e32 v2, s1
	v_add_co_u32_e32 v0, vcc, s0, v0
	v_addc_co_u32_e32 v1, vcc, v2, v1, vcc
	global_load_ushort v2, v[0:1], off
	v_mbcnt_hi_u32_b32 v3, -1, v3
	v_and_b32_e32 v4, 63, v3
	v_add_u32_e32 v4, s3, v4
	v_mov_b32_e32 v5, s3
	v_cmp_gt_i32_e32 vcc, 64, v4
	v_cndmask_b32_e32 v4, 0, v5, vcc
	v_add_lshl_u32 v3, v4, v3, 2
	s_waitcnt vmcnt(0)
	ds_bpermute_b32 v2, v3, v2
	s_waitcnt lgkmcnt(0)
	global_store_short v[0:1], v2, off
	s_endpgm
	.section	.rodata,"a",@progbits
	.p2align	6, 0x0
	.amdhsa_kernel _Z19shuffle_down_kernelILj64E6__halfEvPT0_j
		.amdhsa_group_segment_fixed_size 0
		.amdhsa_private_segment_fixed_size 0
		.amdhsa_kernarg_size 272
		.amdhsa_user_sgpr_count 6
		.amdhsa_user_sgpr_private_segment_buffer 1
		.amdhsa_user_sgpr_dispatch_ptr 0
		.amdhsa_user_sgpr_queue_ptr 0
		.amdhsa_user_sgpr_kernarg_segment_ptr 1
		.amdhsa_user_sgpr_dispatch_id 0
		.amdhsa_user_sgpr_flat_scratch_init 0
		.amdhsa_user_sgpr_kernarg_preload_length 0
		.amdhsa_user_sgpr_kernarg_preload_offset 0
		.amdhsa_user_sgpr_private_segment_size 0
		.amdhsa_uses_dynamic_stack 0
		.amdhsa_system_sgpr_private_segment_wavefront_offset 0
		.amdhsa_system_sgpr_workgroup_id_x 1
		.amdhsa_system_sgpr_workgroup_id_y 0
		.amdhsa_system_sgpr_workgroup_id_z 0
		.amdhsa_system_sgpr_workgroup_info 0
		.amdhsa_system_vgpr_workitem_id 0
		.amdhsa_next_free_vgpr 6
		.amdhsa_next_free_sgpr 7
		.amdhsa_accum_offset 8
		.amdhsa_reserve_vcc 1
		.amdhsa_reserve_flat_scratch 0
		.amdhsa_float_round_mode_32 0
		.amdhsa_float_round_mode_16_64 0
		.amdhsa_float_denorm_mode_32 3
		.amdhsa_float_denorm_mode_16_64 3
		.amdhsa_dx10_clamp 1
		.amdhsa_ieee_mode 1
		.amdhsa_fp16_overflow 0
		.amdhsa_tg_split 0
		.amdhsa_exception_fp_ieee_invalid_op 0
		.amdhsa_exception_fp_denorm_src 0
		.amdhsa_exception_fp_ieee_div_zero 0
		.amdhsa_exception_fp_ieee_overflow 0
		.amdhsa_exception_fp_ieee_underflow 0
		.amdhsa_exception_fp_ieee_inexact 0
		.amdhsa_exception_int_div_zero 0
	.end_amdhsa_kernel
	.section	.text._Z19shuffle_down_kernelILj64E6__halfEvPT0_j,"axG",@progbits,_Z19shuffle_down_kernelILj64E6__halfEvPT0_j,comdat
.Lfunc_end17:
	.size	_Z19shuffle_down_kernelILj64E6__halfEvPT0_j, .Lfunc_end17-_Z19shuffle_down_kernelILj64E6__halfEvPT0_j
                                        ; -- End function
	.section	.AMDGPU.csdata,"",@progbits
; Kernel info:
; codeLenInByte = 148
; NumSgprs: 11
; NumVgprs: 6
; NumAgprs: 0
; TotalNumVgprs: 6
; ScratchSize: 0
; MemoryBound: 0
; FloatMode: 240
; IeeeMode: 1
; LDSByteSize: 0 bytes/workgroup (compile time only)
; SGPRBlocks: 1
; VGPRBlocks: 0
; NumSGPRsForWavesPerEU: 11
; NumVGPRsForWavesPerEU: 6
; AccumOffset: 8
; Occupancy: 8
; WaveLimiterHint : 0
; COMPUTE_PGM_RSRC2:SCRATCH_EN: 0
; COMPUTE_PGM_RSRC2:USER_SGPR: 6
; COMPUTE_PGM_RSRC2:TRAP_HANDLER: 0
; COMPUTE_PGM_RSRC2:TGID_X_EN: 1
; COMPUTE_PGM_RSRC2:TGID_Y_EN: 0
; COMPUTE_PGM_RSRC2:TGID_Z_EN: 0
; COMPUTE_PGM_RSRC2:TIDIG_COMP_CNT: 0
; COMPUTE_PGM_RSRC3_GFX90A:ACCUM_OFFSET: 1
; COMPUTE_PGM_RSRC3_GFX90A:TG_SPLIT: 0
	.section	.text._Z19shuffle_down_kernelILj64EhEvPT0_j,"axG",@progbits,_Z19shuffle_down_kernelILj64EhEvPT0_j,comdat
	.protected	_Z19shuffle_down_kernelILj64EhEvPT0_j ; -- Begin function _Z19shuffle_down_kernelILj64EhEvPT0_j
	.globl	_Z19shuffle_down_kernelILj64EhEvPT0_j
	.p2align	8
	.type	_Z19shuffle_down_kernelILj64EhEvPT0_j,@function
_Z19shuffle_down_kernelILj64EhEvPT0_j:  ; @_Z19shuffle_down_kernelILj64EhEvPT0_j
; %bb.0:
	s_load_dword s2, s[4:5], 0x1c
	s_load_dwordx2 s[0:1], s[4:5], 0x0
	s_load_dword s3, s[4:5], 0x8
	v_mbcnt_lo_u32_b32 v2, -1, 0
	v_mbcnt_hi_u32_b32 v2, -1, v2
	s_waitcnt lgkmcnt(0)
	s_and_b32 s2, s2, 0xffff
	s_mul_i32 s6, s6, s2
	v_add_u32_e32 v0, s6, v0
	global_load_ubyte v1, v0, s[0:1]
	v_and_b32_e32 v3, 63, v2
	v_add_u32_e32 v3, s3, v3
	v_mov_b32_e32 v4, s3
	v_cmp_gt_i32_e32 vcc, 64, v3
	v_cndmask_b32_e32 v3, 0, v4, vcc
	v_add_lshl_u32 v2, v3, v2, 2
	s_waitcnt vmcnt(0)
	ds_bpermute_b32 v1, v2, v1
	s_waitcnt lgkmcnt(0)
	global_store_byte v0, v1, s[0:1]
	s_endpgm
	.section	.rodata,"a",@progbits
	.p2align	6, 0x0
	.amdhsa_kernel _Z19shuffle_down_kernelILj64EhEvPT0_j
		.amdhsa_group_segment_fixed_size 0
		.amdhsa_private_segment_fixed_size 0
		.amdhsa_kernarg_size 272
		.amdhsa_user_sgpr_count 6
		.amdhsa_user_sgpr_private_segment_buffer 1
		.amdhsa_user_sgpr_dispatch_ptr 0
		.amdhsa_user_sgpr_queue_ptr 0
		.amdhsa_user_sgpr_kernarg_segment_ptr 1
		.amdhsa_user_sgpr_dispatch_id 0
		.amdhsa_user_sgpr_flat_scratch_init 0
		.amdhsa_user_sgpr_kernarg_preload_length 0
		.amdhsa_user_sgpr_kernarg_preload_offset 0
		.amdhsa_user_sgpr_private_segment_size 0
		.amdhsa_uses_dynamic_stack 0
		.amdhsa_system_sgpr_private_segment_wavefront_offset 0
		.amdhsa_system_sgpr_workgroup_id_x 1
		.amdhsa_system_sgpr_workgroup_id_y 0
		.amdhsa_system_sgpr_workgroup_id_z 0
		.amdhsa_system_sgpr_workgroup_info 0
		.amdhsa_system_vgpr_workitem_id 0
		.amdhsa_next_free_vgpr 5
		.amdhsa_next_free_sgpr 7
		.amdhsa_accum_offset 8
		.amdhsa_reserve_vcc 1
		.amdhsa_reserve_flat_scratch 0
		.amdhsa_float_round_mode_32 0
		.amdhsa_float_round_mode_16_64 0
		.amdhsa_float_denorm_mode_32 3
		.amdhsa_float_denorm_mode_16_64 3
		.amdhsa_dx10_clamp 1
		.amdhsa_ieee_mode 1
		.amdhsa_fp16_overflow 0
		.amdhsa_tg_split 0
		.amdhsa_exception_fp_ieee_invalid_op 0
		.amdhsa_exception_fp_denorm_src 0
		.amdhsa_exception_fp_ieee_div_zero 0
		.amdhsa_exception_fp_ieee_overflow 0
		.amdhsa_exception_fp_ieee_underflow 0
		.amdhsa_exception_fp_ieee_inexact 0
		.amdhsa_exception_int_div_zero 0
	.end_amdhsa_kernel
	.section	.text._Z19shuffle_down_kernelILj64EhEvPT0_j,"axG",@progbits,_Z19shuffle_down_kernelILj64EhEvPT0_j,comdat
.Lfunc_end18:
	.size	_Z19shuffle_down_kernelILj64EhEvPT0_j, .Lfunc_end18-_Z19shuffle_down_kernelILj64EhEvPT0_j
                                        ; -- End function
	.section	.AMDGPU.csdata,"",@progbits
; Kernel info:
; codeLenInByte = 124
; NumSgprs: 11
; NumVgprs: 5
; NumAgprs: 0
; TotalNumVgprs: 5
; ScratchSize: 0
; MemoryBound: 0
; FloatMode: 240
; IeeeMode: 1
; LDSByteSize: 0 bytes/workgroup (compile time only)
; SGPRBlocks: 1
; VGPRBlocks: 0
; NumSGPRsForWavesPerEU: 11
; NumVGPRsForWavesPerEU: 5
; AccumOffset: 8
; Occupancy: 8
; WaveLimiterHint : 0
; COMPUTE_PGM_RSRC2:SCRATCH_EN: 0
; COMPUTE_PGM_RSRC2:USER_SGPR: 6
; COMPUTE_PGM_RSRC2:TRAP_HANDLER: 0
; COMPUTE_PGM_RSRC2:TGID_X_EN: 1
; COMPUTE_PGM_RSRC2:TGID_Y_EN: 0
; COMPUTE_PGM_RSRC2:TGID_Z_EN: 0
; COMPUTE_PGM_RSRC2:TIDIG_COMP_CNT: 0
; COMPUTE_PGM_RSRC3_GFX90A:ACCUM_OFFSET: 1
; COMPUTE_PGM_RSRC3_GFX90A:TG_SPLIT: 0
	.section	.text._Z19shuffle_down_kernelILj64EdEvPT0_j,"axG",@progbits,_Z19shuffle_down_kernelILj64EdEvPT0_j,comdat
	.protected	_Z19shuffle_down_kernelILj64EdEvPT0_j ; -- Begin function _Z19shuffle_down_kernelILj64EdEvPT0_j
	.globl	_Z19shuffle_down_kernelILj64EdEvPT0_j
	.p2align	8
	.type	_Z19shuffle_down_kernelILj64EdEvPT0_j,@function
_Z19shuffle_down_kernelILj64EdEvPT0_j:  ; @_Z19shuffle_down_kernelILj64EdEvPT0_j
; %bb.0:
	s_load_dword s2, s[4:5], 0x1c
	s_load_dwordx2 s[0:1], s[4:5], 0x0
	s_load_dword s3, s[4:5], 0x8
	v_mov_b32_e32 v1, 0
	v_mbcnt_lo_u32_b32 v4, -1, 0
	s_waitcnt lgkmcnt(0)
	s_and_b32 s2, s2, 0xffff
	s_mul_i32 s6, s6, s2
	v_add_u32_e32 v0, s6, v0
	v_lshlrev_b64 v[0:1], 3, v[0:1]
	v_mov_b32_e32 v2, s1
	v_add_co_u32_e32 v0, vcc, s0, v0
	v_addc_co_u32_e32 v1, vcc, v2, v1, vcc
	global_load_dwordx2 v[2:3], v[0:1], off
	v_mbcnt_hi_u32_b32 v4, -1, v4
	v_and_b32_e32 v5, 63, v4
	v_add_u32_e32 v5, s3, v5
	v_mov_b32_e32 v6, s3
	v_cmp_gt_i32_e32 vcc, 64, v5
	v_cndmask_b32_e32 v5, 0, v6, vcc
	v_add_lshl_u32 v4, v5, v4, 2
	s_waitcnt vmcnt(0)
	ds_bpermute_b32 v2, v4, v2
	ds_bpermute_b32 v3, v4, v3
	s_waitcnt lgkmcnt(0)
	global_store_dwordx2 v[0:1], v[2:3], off
	s_endpgm
	.section	.rodata,"a",@progbits
	.p2align	6, 0x0
	.amdhsa_kernel _Z19shuffle_down_kernelILj64EdEvPT0_j
		.amdhsa_group_segment_fixed_size 0
		.amdhsa_private_segment_fixed_size 0
		.amdhsa_kernarg_size 272
		.amdhsa_user_sgpr_count 6
		.amdhsa_user_sgpr_private_segment_buffer 1
		.amdhsa_user_sgpr_dispatch_ptr 0
		.amdhsa_user_sgpr_queue_ptr 0
		.amdhsa_user_sgpr_kernarg_segment_ptr 1
		.amdhsa_user_sgpr_dispatch_id 0
		.amdhsa_user_sgpr_flat_scratch_init 0
		.amdhsa_user_sgpr_kernarg_preload_length 0
		.amdhsa_user_sgpr_kernarg_preload_offset 0
		.amdhsa_user_sgpr_private_segment_size 0
		.amdhsa_uses_dynamic_stack 0
		.amdhsa_system_sgpr_private_segment_wavefront_offset 0
		.amdhsa_system_sgpr_workgroup_id_x 1
		.amdhsa_system_sgpr_workgroup_id_y 0
		.amdhsa_system_sgpr_workgroup_id_z 0
		.amdhsa_system_sgpr_workgroup_info 0
		.amdhsa_system_vgpr_workitem_id 0
		.amdhsa_next_free_vgpr 7
		.amdhsa_next_free_sgpr 7
		.amdhsa_accum_offset 8
		.amdhsa_reserve_vcc 1
		.amdhsa_reserve_flat_scratch 0
		.amdhsa_float_round_mode_32 0
		.amdhsa_float_round_mode_16_64 0
		.amdhsa_float_denorm_mode_32 3
		.amdhsa_float_denorm_mode_16_64 3
		.amdhsa_dx10_clamp 1
		.amdhsa_ieee_mode 1
		.amdhsa_fp16_overflow 0
		.amdhsa_tg_split 0
		.amdhsa_exception_fp_ieee_invalid_op 0
		.amdhsa_exception_fp_denorm_src 0
		.amdhsa_exception_fp_ieee_div_zero 0
		.amdhsa_exception_fp_ieee_overflow 0
		.amdhsa_exception_fp_ieee_underflow 0
		.amdhsa_exception_fp_ieee_inexact 0
		.amdhsa_exception_int_div_zero 0
	.end_amdhsa_kernel
	.section	.text._Z19shuffle_down_kernelILj64EdEvPT0_j,"axG",@progbits,_Z19shuffle_down_kernelILj64EdEvPT0_j,comdat
.Lfunc_end19:
	.size	_Z19shuffle_down_kernelILj64EdEvPT0_j, .Lfunc_end19-_Z19shuffle_down_kernelILj64EdEvPT0_j
                                        ; -- End function
	.section	.AMDGPU.csdata,"",@progbits
; Kernel info:
; codeLenInByte = 156
; NumSgprs: 11
; NumVgprs: 7
; NumAgprs: 0
; TotalNumVgprs: 7
; ScratchSize: 0
; MemoryBound: 0
; FloatMode: 240
; IeeeMode: 1
; LDSByteSize: 0 bytes/workgroup (compile time only)
; SGPRBlocks: 1
; VGPRBlocks: 0
; NumSGPRsForWavesPerEU: 11
; NumVGPRsForWavesPerEU: 7
; AccumOffset: 8
; Occupancy: 8
; WaveLimiterHint : 0
; COMPUTE_PGM_RSRC2:SCRATCH_EN: 0
; COMPUTE_PGM_RSRC2:USER_SGPR: 6
; COMPUTE_PGM_RSRC2:TRAP_HANDLER: 0
; COMPUTE_PGM_RSRC2:TGID_X_EN: 1
; COMPUTE_PGM_RSRC2:TGID_Y_EN: 0
; COMPUTE_PGM_RSRC2:TGID_Z_EN: 0
; COMPUTE_PGM_RSRC2:TIDIG_COMP_CNT: 0
; COMPUTE_PGM_RSRC3_GFX90A:ACCUM_OFFSET: 1
; COMPUTE_PGM_RSRC3_GFX90A:TG_SPLIT: 0
	.section	.text._Z19shuffle_down_kernelILj64EfEvPT0_j,"axG",@progbits,_Z19shuffle_down_kernelILj64EfEvPT0_j,comdat
	.protected	_Z19shuffle_down_kernelILj64EfEvPT0_j ; -- Begin function _Z19shuffle_down_kernelILj64EfEvPT0_j
	.globl	_Z19shuffle_down_kernelILj64EfEvPT0_j
	.p2align	8
	.type	_Z19shuffle_down_kernelILj64EfEvPT0_j,@function
_Z19shuffle_down_kernelILj64EfEvPT0_j:  ; @_Z19shuffle_down_kernelILj64EfEvPT0_j
; %bb.0:
	s_load_dword s2, s[4:5], 0x1c
	s_load_dwordx2 s[0:1], s[4:5], 0x0
	s_load_dword s3, s[4:5], 0x8
	v_mov_b32_e32 v1, 0
	v_mbcnt_lo_u32_b32 v3, -1, 0
	s_waitcnt lgkmcnt(0)
	s_and_b32 s2, s2, 0xffff
	s_mul_i32 s6, s6, s2
	v_add_u32_e32 v0, s6, v0
	v_lshlrev_b64 v[0:1], 2, v[0:1]
	v_mov_b32_e32 v2, s1
	v_add_co_u32_e32 v0, vcc, s0, v0
	v_addc_co_u32_e32 v1, vcc, v2, v1, vcc
	global_load_dword v2, v[0:1], off
	v_mbcnt_hi_u32_b32 v3, -1, v3
	v_and_b32_e32 v4, 63, v3
	v_add_u32_e32 v4, s3, v4
	v_mov_b32_e32 v5, s3
	v_cmp_gt_i32_e32 vcc, 64, v4
	v_cndmask_b32_e32 v4, 0, v5, vcc
	v_add_lshl_u32 v3, v4, v3, 2
	s_waitcnt vmcnt(0)
	ds_bpermute_b32 v2, v3, v2
	s_waitcnt lgkmcnt(0)
	global_store_dword v[0:1], v2, off
	s_endpgm
	.section	.rodata,"a",@progbits
	.p2align	6, 0x0
	.amdhsa_kernel _Z19shuffle_down_kernelILj64EfEvPT0_j
		.amdhsa_group_segment_fixed_size 0
		.amdhsa_private_segment_fixed_size 0
		.amdhsa_kernarg_size 272
		.amdhsa_user_sgpr_count 6
		.amdhsa_user_sgpr_private_segment_buffer 1
		.amdhsa_user_sgpr_dispatch_ptr 0
		.amdhsa_user_sgpr_queue_ptr 0
		.amdhsa_user_sgpr_kernarg_segment_ptr 1
		.amdhsa_user_sgpr_dispatch_id 0
		.amdhsa_user_sgpr_flat_scratch_init 0
		.amdhsa_user_sgpr_kernarg_preload_length 0
		.amdhsa_user_sgpr_kernarg_preload_offset 0
		.amdhsa_user_sgpr_private_segment_size 0
		.amdhsa_uses_dynamic_stack 0
		.amdhsa_system_sgpr_private_segment_wavefront_offset 0
		.amdhsa_system_sgpr_workgroup_id_x 1
		.amdhsa_system_sgpr_workgroup_id_y 0
		.amdhsa_system_sgpr_workgroup_id_z 0
		.amdhsa_system_sgpr_workgroup_info 0
		.amdhsa_system_vgpr_workitem_id 0
		.amdhsa_next_free_vgpr 6
		.amdhsa_next_free_sgpr 7
		.amdhsa_accum_offset 8
		.amdhsa_reserve_vcc 1
		.amdhsa_reserve_flat_scratch 0
		.amdhsa_float_round_mode_32 0
		.amdhsa_float_round_mode_16_64 0
		.amdhsa_float_denorm_mode_32 3
		.amdhsa_float_denorm_mode_16_64 3
		.amdhsa_dx10_clamp 1
		.amdhsa_ieee_mode 1
		.amdhsa_fp16_overflow 0
		.amdhsa_tg_split 0
		.amdhsa_exception_fp_ieee_invalid_op 0
		.amdhsa_exception_fp_denorm_src 0
		.amdhsa_exception_fp_ieee_div_zero 0
		.amdhsa_exception_fp_ieee_overflow 0
		.amdhsa_exception_fp_ieee_underflow 0
		.amdhsa_exception_fp_ieee_inexact 0
		.amdhsa_exception_int_div_zero 0
	.end_amdhsa_kernel
	.section	.text._Z19shuffle_down_kernelILj64EfEvPT0_j,"axG",@progbits,_Z19shuffle_down_kernelILj64EfEvPT0_j,comdat
.Lfunc_end20:
	.size	_Z19shuffle_down_kernelILj64EfEvPT0_j, .Lfunc_end20-_Z19shuffle_down_kernelILj64EfEvPT0_j
                                        ; -- End function
	.section	.AMDGPU.csdata,"",@progbits
; Kernel info:
; codeLenInByte = 148
; NumSgprs: 11
; NumVgprs: 6
; NumAgprs: 0
; TotalNumVgprs: 6
; ScratchSize: 0
; MemoryBound: 0
; FloatMode: 240
; IeeeMode: 1
; LDSByteSize: 0 bytes/workgroup (compile time only)
; SGPRBlocks: 1
; VGPRBlocks: 0
; NumSGPRsForWavesPerEU: 11
; NumVGPRsForWavesPerEU: 6
; AccumOffset: 8
; Occupancy: 8
; WaveLimiterHint : 0
; COMPUTE_PGM_RSRC2:SCRATCH_EN: 0
; COMPUTE_PGM_RSRC2:USER_SGPR: 6
; COMPUTE_PGM_RSRC2:TRAP_HANDLER: 0
; COMPUTE_PGM_RSRC2:TGID_X_EN: 1
; COMPUTE_PGM_RSRC2:TGID_Y_EN: 0
; COMPUTE_PGM_RSRC2:TGID_Z_EN: 0
; COMPUTE_PGM_RSRC2:TIDIG_COMP_CNT: 0
; COMPUTE_PGM_RSRC3_GFX90A:ACCUM_OFFSET: 1
; COMPUTE_PGM_RSRC3_GFX90A:TG_SPLIT: 0
	.section	.text._Z19shuffle_down_kernelILj32EhEvPT0_j,"axG",@progbits,_Z19shuffle_down_kernelILj32EhEvPT0_j,comdat
	.protected	_Z19shuffle_down_kernelILj32EhEvPT0_j ; -- Begin function _Z19shuffle_down_kernelILj32EhEvPT0_j
	.globl	_Z19shuffle_down_kernelILj32EhEvPT0_j
	.p2align	8
	.type	_Z19shuffle_down_kernelILj32EhEvPT0_j,@function
_Z19shuffle_down_kernelILj32EhEvPT0_j:  ; @_Z19shuffle_down_kernelILj32EhEvPT0_j
; %bb.0:
	s_load_dword s2, s[4:5], 0x1c
	s_load_dwordx2 s[0:1], s[4:5], 0x0
	s_load_dword s3, s[4:5], 0x8
	v_mbcnt_lo_u32_b32 v2, -1, 0
	v_mbcnt_hi_u32_b32 v2, -1, v2
	s_waitcnt lgkmcnt(0)
	s_and_b32 s2, s2, 0xffff
	s_mul_i32 s6, s6, s2
	v_add_u32_e32 v0, s6, v0
	global_load_ubyte v1, v0, s[0:1]
	v_and_b32_e32 v3, 31, v2
	v_add_u32_e32 v3, s3, v3
	v_mov_b32_e32 v4, s3
	v_cmp_gt_i32_e32 vcc, 32, v3
	v_cndmask_b32_e32 v3, 0, v4, vcc
	v_add_lshl_u32 v2, v3, v2, 2
	s_waitcnt vmcnt(0)
	ds_bpermute_b32 v1, v2, v1
	s_waitcnt lgkmcnt(0)
	global_store_byte v0, v1, s[0:1]
	s_endpgm
	.section	.rodata,"a",@progbits
	.p2align	6, 0x0
	.amdhsa_kernel _Z19shuffle_down_kernelILj32EhEvPT0_j
		.amdhsa_group_segment_fixed_size 0
		.amdhsa_private_segment_fixed_size 0
		.amdhsa_kernarg_size 272
		.amdhsa_user_sgpr_count 6
		.amdhsa_user_sgpr_private_segment_buffer 1
		.amdhsa_user_sgpr_dispatch_ptr 0
		.amdhsa_user_sgpr_queue_ptr 0
		.amdhsa_user_sgpr_kernarg_segment_ptr 1
		.amdhsa_user_sgpr_dispatch_id 0
		.amdhsa_user_sgpr_flat_scratch_init 0
		.amdhsa_user_sgpr_kernarg_preload_length 0
		.amdhsa_user_sgpr_kernarg_preload_offset 0
		.amdhsa_user_sgpr_private_segment_size 0
		.amdhsa_uses_dynamic_stack 0
		.amdhsa_system_sgpr_private_segment_wavefront_offset 0
		.amdhsa_system_sgpr_workgroup_id_x 1
		.amdhsa_system_sgpr_workgroup_id_y 0
		.amdhsa_system_sgpr_workgroup_id_z 0
		.amdhsa_system_sgpr_workgroup_info 0
		.amdhsa_system_vgpr_workitem_id 0
		.amdhsa_next_free_vgpr 5
		.amdhsa_next_free_sgpr 7
		.amdhsa_accum_offset 8
		.amdhsa_reserve_vcc 1
		.amdhsa_reserve_flat_scratch 0
		.amdhsa_float_round_mode_32 0
		.amdhsa_float_round_mode_16_64 0
		.amdhsa_float_denorm_mode_32 3
		.amdhsa_float_denorm_mode_16_64 3
		.amdhsa_dx10_clamp 1
		.amdhsa_ieee_mode 1
		.amdhsa_fp16_overflow 0
		.amdhsa_tg_split 0
		.amdhsa_exception_fp_ieee_invalid_op 0
		.amdhsa_exception_fp_denorm_src 0
		.amdhsa_exception_fp_ieee_div_zero 0
		.amdhsa_exception_fp_ieee_overflow 0
		.amdhsa_exception_fp_ieee_underflow 0
		.amdhsa_exception_fp_ieee_inexact 0
		.amdhsa_exception_int_div_zero 0
	.end_amdhsa_kernel
	.section	.text._Z19shuffle_down_kernelILj32EhEvPT0_j,"axG",@progbits,_Z19shuffle_down_kernelILj32EhEvPT0_j,comdat
.Lfunc_end21:
	.size	_Z19shuffle_down_kernelILj32EhEvPT0_j, .Lfunc_end21-_Z19shuffle_down_kernelILj32EhEvPT0_j
                                        ; -- End function
	.section	.AMDGPU.csdata,"",@progbits
; Kernel info:
; codeLenInByte = 124
; NumSgprs: 11
; NumVgprs: 5
; NumAgprs: 0
; TotalNumVgprs: 5
; ScratchSize: 0
; MemoryBound: 0
; FloatMode: 240
; IeeeMode: 1
; LDSByteSize: 0 bytes/workgroup (compile time only)
; SGPRBlocks: 1
; VGPRBlocks: 0
; NumSGPRsForWavesPerEU: 11
; NumVGPRsForWavesPerEU: 5
; AccumOffset: 8
; Occupancy: 8
; WaveLimiterHint : 0
; COMPUTE_PGM_RSRC2:SCRATCH_EN: 0
; COMPUTE_PGM_RSRC2:USER_SGPR: 6
; COMPUTE_PGM_RSRC2:TRAP_HANDLER: 0
; COMPUTE_PGM_RSRC2:TGID_X_EN: 1
; COMPUTE_PGM_RSRC2:TGID_Y_EN: 0
; COMPUTE_PGM_RSRC2:TGID_Z_EN: 0
; COMPUTE_PGM_RSRC2:TIDIG_COMP_CNT: 0
; COMPUTE_PGM_RSRC3_GFX90A:ACCUM_OFFSET: 1
; COMPUTE_PGM_RSRC3_GFX90A:TG_SPLIT: 0
	.section	.text._Z19shuffle_down_kernelILj32E12hip_bfloat16EvPT0_j,"axG",@progbits,_Z19shuffle_down_kernelILj32E12hip_bfloat16EvPT0_j,comdat
	.protected	_Z19shuffle_down_kernelILj32E12hip_bfloat16EvPT0_j ; -- Begin function _Z19shuffle_down_kernelILj32E12hip_bfloat16EvPT0_j
	.globl	_Z19shuffle_down_kernelILj32E12hip_bfloat16EvPT0_j
	.p2align	8
	.type	_Z19shuffle_down_kernelILj32E12hip_bfloat16EvPT0_j,@function
_Z19shuffle_down_kernelILj32E12hip_bfloat16EvPT0_j: ; @_Z19shuffle_down_kernelILj32E12hip_bfloat16EvPT0_j
; %bb.0:
	s_load_dword s2, s[4:5], 0x1c
	s_load_dwordx2 s[0:1], s[4:5], 0x0
	s_load_dword s3, s[4:5], 0x8
	v_mov_b32_e32 v1, 0
	v_mbcnt_lo_u32_b32 v3, -1, 0
	s_waitcnt lgkmcnt(0)
	s_and_b32 s2, s2, 0xffff
	s_mul_i32 s6, s6, s2
	v_add_u32_e32 v0, s6, v0
	v_lshlrev_b64 v[0:1], 1, v[0:1]
	v_mov_b32_e32 v2, s1
	v_add_co_u32_e32 v0, vcc, s0, v0
	v_addc_co_u32_e32 v1, vcc, v2, v1, vcc
	global_load_ushort v2, v[0:1], off
	v_mbcnt_hi_u32_b32 v3, -1, v3
	v_and_b32_e32 v4, 31, v3
	v_add_u32_e32 v4, s3, v4
	v_mov_b32_e32 v5, s3
	v_cmp_gt_i32_e32 vcc, 32, v4
	v_cndmask_b32_e32 v4, 0, v5, vcc
	v_add_lshl_u32 v3, v4, v3, 2
	s_waitcnt vmcnt(0)
	ds_bpermute_b32 v2, v3, v2
	s_waitcnt lgkmcnt(0)
	global_store_short v[0:1], v2, off
	s_endpgm
	.section	.rodata,"a",@progbits
	.p2align	6, 0x0
	.amdhsa_kernel _Z19shuffle_down_kernelILj32E12hip_bfloat16EvPT0_j
		.amdhsa_group_segment_fixed_size 0
		.amdhsa_private_segment_fixed_size 0
		.amdhsa_kernarg_size 272
		.amdhsa_user_sgpr_count 6
		.amdhsa_user_sgpr_private_segment_buffer 1
		.amdhsa_user_sgpr_dispatch_ptr 0
		.amdhsa_user_sgpr_queue_ptr 0
		.amdhsa_user_sgpr_kernarg_segment_ptr 1
		.amdhsa_user_sgpr_dispatch_id 0
		.amdhsa_user_sgpr_flat_scratch_init 0
		.amdhsa_user_sgpr_kernarg_preload_length 0
		.amdhsa_user_sgpr_kernarg_preload_offset 0
		.amdhsa_user_sgpr_private_segment_size 0
		.amdhsa_uses_dynamic_stack 0
		.amdhsa_system_sgpr_private_segment_wavefront_offset 0
		.amdhsa_system_sgpr_workgroup_id_x 1
		.amdhsa_system_sgpr_workgroup_id_y 0
		.amdhsa_system_sgpr_workgroup_id_z 0
		.amdhsa_system_sgpr_workgroup_info 0
		.amdhsa_system_vgpr_workitem_id 0
		.amdhsa_next_free_vgpr 6
		.amdhsa_next_free_sgpr 7
		.amdhsa_accum_offset 8
		.amdhsa_reserve_vcc 1
		.amdhsa_reserve_flat_scratch 0
		.amdhsa_float_round_mode_32 0
		.amdhsa_float_round_mode_16_64 0
		.amdhsa_float_denorm_mode_32 3
		.amdhsa_float_denorm_mode_16_64 3
		.amdhsa_dx10_clamp 1
		.amdhsa_ieee_mode 1
		.amdhsa_fp16_overflow 0
		.amdhsa_tg_split 0
		.amdhsa_exception_fp_ieee_invalid_op 0
		.amdhsa_exception_fp_denorm_src 0
		.amdhsa_exception_fp_ieee_div_zero 0
		.amdhsa_exception_fp_ieee_overflow 0
		.amdhsa_exception_fp_ieee_underflow 0
		.amdhsa_exception_fp_ieee_inexact 0
		.amdhsa_exception_int_div_zero 0
	.end_amdhsa_kernel
	.section	.text._Z19shuffle_down_kernelILj32E12hip_bfloat16EvPT0_j,"axG",@progbits,_Z19shuffle_down_kernelILj32E12hip_bfloat16EvPT0_j,comdat
.Lfunc_end22:
	.size	_Z19shuffle_down_kernelILj32E12hip_bfloat16EvPT0_j, .Lfunc_end22-_Z19shuffle_down_kernelILj32E12hip_bfloat16EvPT0_j
                                        ; -- End function
	.section	.AMDGPU.csdata,"",@progbits
; Kernel info:
; codeLenInByte = 148
; NumSgprs: 11
; NumVgprs: 6
; NumAgprs: 0
; TotalNumVgprs: 6
; ScratchSize: 0
; MemoryBound: 0
; FloatMode: 240
; IeeeMode: 1
; LDSByteSize: 0 bytes/workgroup (compile time only)
; SGPRBlocks: 1
; VGPRBlocks: 0
; NumSGPRsForWavesPerEU: 11
; NumVGPRsForWavesPerEU: 6
; AccumOffset: 8
; Occupancy: 8
; WaveLimiterHint : 0
; COMPUTE_PGM_RSRC2:SCRATCH_EN: 0
; COMPUTE_PGM_RSRC2:USER_SGPR: 6
; COMPUTE_PGM_RSRC2:TRAP_HANDLER: 0
; COMPUTE_PGM_RSRC2:TGID_X_EN: 1
; COMPUTE_PGM_RSRC2:TGID_Y_EN: 0
; COMPUTE_PGM_RSRC2:TGID_Z_EN: 0
; COMPUTE_PGM_RSRC2:TIDIG_COMP_CNT: 0
; COMPUTE_PGM_RSRC3_GFX90A:ACCUM_OFFSET: 1
; COMPUTE_PGM_RSRC3_GFX90A:TG_SPLIT: 0
	.section	.text._Z19shuffle_down_kernelILj32E6__halfEvPT0_j,"axG",@progbits,_Z19shuffle_down_kernelILj32E6__halfEvPT0_j,comdat
	.protected	_Z19shuffle_down_kernelILj32E6__halfEvPT0_j ; -- Begin function _Z19shuffle_down_kernelILj32E6__halfEvPT0_j
	.globl	_Z19shuffle_down_kernelILj32E6__halfEvPT0_j
	.p2align	8
	.type	_Z19shuffle_down_kernelILj32E6__halfEvPT0_j,@function
_Z19shuffle_down_kernelILj32E6__halfEvPT0_j: ; @_Z19shuffle_down_kernelILj32E6__halfEvPT0_j
; %bb.0:
	s_load_dword s2, s[4:5], 0x1c
	s_load_dwordx2 s[0:1], s[4:5], 0x0
	s_load_dword s3, s[4:5], 0x8
	v_mov_b32_e32 v1, 0
	v_mbcnt_lo_u32_b32 v3, -1, 0
	s_waitcnt lgkmcnt(0)
	s_and_b32 s2, s2, 0xffff
	s_mul_i32 s6, s6, s2
	v_add_u32_e32 v0, s6, v0
	v_lshlrev_b64 v[0:1], 1, v[0:1]
	v_mov_b32_e32 v2, s1
	v_add_co_u32_e32 v0, vcc, s0, v0
	v_addc_co_u32_e32 v1, vcc, v2, v1, vcc
	global_load_ushort v2, v[0:1], off
	v_mbcnt_hi_u32_b32 v3, -1, v3
	v_and_b32_e32 v4, 31, v3
	v_add_u32_e32 v4, s3, v4
	v_mov_b32_e32 v5, s3
	v_cmp_gt_i32_e32 vcc, 32, v4
	v_cndmask_b32_e32 v4, 0, v5, vcc
	v_add_lshl_u32 v3, v4, v3, 2
	s_waitcnt vmcnt(0)
	ds_bpermute_b32 v2, v3, v2
	s_waitcnt lgkmcnt(0)
	global_store_short v[0:1], v2, off
	s_endpgm
	.section	.rodata,"a",@progbits
	.p2align	6, 0x0
	.amdhsa_kernel _Z19shuffle_down_kernelILj32E6__halfEvPT0_j
		.amdhsa_group_segment_fixed_size 0
		.amdhsa_private_segment_fixed_size 0
		.amdhsa_kernarg_size 272
		.amdhsa_user_sgpr_count 6
		.amdhsa_user_sgpr_private_segment_buffer 1
		.amdhsa_user_sgpr_dispatch_ptr 0
		.amdhsa_user_sgpr_queue_ptr 0
		.amdhsa_user_sgpr_kernarg_segment_ptr 1
		.amdhsa_user_sgpr_dispatch_id 0
		.amdhsa_user_sgpr_flat_scratch_init 0
		.amdhsa_user_sgpr_kernarg_preload_length 0
		.amdhsa_user_sgpr_kernarg_preload_offset 0
		.amdhsa_user_sgpr_private_segment_size 0
		.amdhsa_uses_dynamic_stack 0
		.amdhsa_system_sgpr_private_segment_wavefront_offset 0
		.amdhsa_system_sgpr_workgroup_id_x 1
		.amdhsa_system_sgpr_workgroup_id_y 0
		.amdhsa_system_sgpr_workgroup_id_z 0
		.amdhsa_system_sgpr_workgroup_info 0
		.amdhsa_system_vgpr_workitem_id 0
		.amdhsa_next_free_vgpr 6
		.amdhsa_next_free_sgpr 7
		.amdhsa_accum_offset 8
		.amdhsa_reserve_vcc 1
		.amdhsa_reserve_flat_scratch 0
		.amdhsa_float_round_mode_32 0
		.amdhsa_float_round_mode_16_64 0
		.amdhsa_float_denorm_mode_32 3
		.amdhsa_float_denorm_mode_16_64 3
		.amdhsa_dx10_clamp 1
		.amdhsa_ieee_mode 1
		.amdhsa_fp16_overflow 0
		.amdhsa_tg_split 0
		.amdhsa_exception_fp_ieee_invalid_op 0
		.amdhsa_exception_fp_denorm_src 0
		.amdhsa_exception_fp_ieee_div_zero 0
		.amdhsa_exception_fp_ieee_overflow 0
		.amdhsa_exception_fp_ieee_underflow 0
		.amdhsa_exception_fp_ieee_inexact 0
		.amdhsa_exception_int_div_zero 0
	.end_amdhsa_kernel
	.section	.text._Z19shuffle_down_kernelILj32E6__halfEvPT0_j,"axG",@progbits,_Z19shuffle_down_kernelILj32E6__halfEvPT0_j,comdat
.Lfunc_end23:
	.size	_Z19shuffle_down_kernelILj32E6__halfEvPT0_j, .Lfunc_end23-_Z19shuffle_down_kernelILj32E6__halfEvPT0_j
                                        ; -- End function
	.section	.AMDGPU.csdata,"",@progbits
; Kernel info:
; codeLenInByte = 148
; NumSgprs: 11
; NumVgprs: 6
; NumAgprs: 0
; TotalNumVgprs: 6
; ScratchSize: 0
; MemoryBound: 0
; FloatMode: 240
; IeeeMode: 1
; LDSByteSize: 0 bytes/workgroup (compile time only)
; SGPRBlocks: 1
; VGPRBlocks: 0
; NumSGPRsForWavesPerEU: 11
; NumVGPRsForWavesPerEU: 6
; AccumOffset: 8
; Occupancy: 8
; WaveLimiterHint : 0
; COMPUTE_PGM_RSRC2:SCRATCH_EN: 0
; COMPUTE_PGM_RSRC2:USER_SGPR: 6
; COMPUTE_PGM_RSRC2:TRAP_HANDLER: 0
; COMPUTE_PGM_RSRC2:TGID_X_EN: 1
; COMPUTE_PGM_RSRC2:TGID_Y_EN: 0
; COMPUTE_PGM_RSRC2:TGID_Z_EN: 0
; COMPUTE_PGM_RSRC2:TIDIG_COMP_CNT: 0
; COMPUTE_PGM_RSRC3_GFX90A:ACCUM_OFFSET: 1
; COMPUTE_PGM_RSRC3_GFX90A:TG_SPLIT: 0
	.section	.text._Z19shuffle_down_kernelILj32EdEvPT0_j,"axG",@progbits,_Z19shuffle_down_kernelILj32EdEvPT0_j,comdat
	.protected	_Z19shuffle_down_kernelILj32EdEvPT0_j ; -- Begin function _Z19shuffle_down_kernelILj32EdEvPT0_j
	.globl	_Z19shuffle_down_kernelILj32EdEvPT0_j
	.p2align	8
	.type	_Z19shuffle_down_kernelILj32EdEvPT0_j,@function
_Z19shuffle_down_kernelILj32EdEvPT0_j:  ; @_Z19shuffle_down_kernelILj32EdEvPT0_j
; %bb.0:
	s_load_dword s2, s[4:5], 0x1c
	s_load_dwordx2 s[0:1], s[4:5], 0x0
	s_load_dword s3, s[4:5], 0x8
	v_mov_b32_e32 v1, 0
	v_mbcnt_lo_u32_b32 v4, -1, 0
	s_waitcnt lgkmcnt(0)
	s_and_b32 s2, s2, 0xffff
	s_mul_i32 s6, s6, s2
	v_add_u32_e32 v0, s6, v0
	v_lshlrev_b64 v[0:1], 3, v[0:1]
	v_mov_b32_e32 v2, s1
	v_add_co_u32_e32 v0, vcc, s0, v0
	v_addc_co_u32_e32 v1, vcc, v2, v1, vcc
	global_load_dwordx2 v[2:3], v[0:1], off
	v_mbcnt_hi_u32_b32 v4, -1, v4
	v_and_b32_e32 v5, 31, v4
	v_add_u32_e32 v5, s3, v5
	v_mov_b32_e32 v6, s3
	v_cmp_gt_i32_e32 vcc, 32, v5
	v_cndmask_b32_e32 v5, 0, v6, vcc
	v_add_lshl_u32 v4, v5, v4, 2
	s_waitcnt vmcnt(0)
	ds_bpermute_b32 v2, v4, v2
	ds_bpermute_b32 v3, v4, v3
	s_waitcnt lgkmcnt(0)
	global_store_dwordx2 v[0:1], v[2:3], off
	s_endpgm
	.section	.rodata,"a",@progbits
	.p2align	6, 0x0
	.amdhsa_kernel _Z19shuffle_down_kernelILj32EdEvPT0_j
		.amdhsa_group_segment_fixed_size 0
		.amdhsa_private_segment_fixed_size 0
		.amdhsa_kernarg_size 272
		.amdhsa_user_sgpr_count 6
		.amdhsa_user_sgpr_private_segment_buffer 1
		.amdhsa_user_sgpr_dispatch_ptr 0
		.amdhsa_user_sgpr_queue_ptr 0
		.amdhsa_user_sgpr_kernarg_segment_ptr 1
		.amdhsa_user_sgpr_dispatch_id 0
		.amdhsa_user_sgpr_flat_scratch_init 0
		.amdhsa_user_sgpr_kernarg_preload_length 0
		.amdhsa_user_sgpr_kernarg_preload_offset 0
		.amdhsa_user_sgpr_private_segment_size 0
		.amdhsa_uses_dynamic_stack 0
		.amdhsa_system_sgpr_private_segment_wavefront_offset 0
		.amdhsa_system_sgpr_workgroup_id_x 1
		.amdhsa_system_sgpr_workgroup_id_y 0
		.amdhsa_system_sgpr_workgroup_id_z 0
		.amdhsa_system_sgpr_workgroup_info 0
		.amdhsa_system_vgpr_workitem_id 0
		.amdhsa_next_free_vgpr 7
		.amdhsa_next_free_sgpr 7
		.amdhsa_accum_offset 8
		.amdhsa_reserve_vcc 1
		.amdhsa_reserve_flat_scratch 0
		.amdhsa_float_round_mode_32 0
		.amdhsa_float_round_mode_16_64 0
		.amdhsa_float_denorm_mode_32 3
		.amdhsa_float_denorm_mode_16_64 3
		.amdhsa_dx10_clamp 1
		.amdhsa_ieee_mode 1
		.amdhsa_fp16_overflow 0
		.amdhsa_tg_split 0
		.amdhsa_exception_fp_ieee_invalid_op 0
		.amdhsa_exception_fp_denorm_src 0
		.amdhsa_exception_fp_ieee_div_zero 0
		.amdhsa_exception_fp_ieee_overflow 0
		.amdhsa_exception_fp_ieee_underflow 0
		.amdhsa_exception_fp_ieee_inexact 0
		.amdhsa_exception_int_div_zero 0
	.end_amdhsa_kernel
	.section	.text._Z19shuffle_down_kernelILj32EdEvPT0_j,"axG",@progbits,_Z19shuffle_down_kernelILj32EdEvPT0_j,comdat
.Lfunc_end24:
	.size	_Z19shuffle_down_kernelILj32EdEvPT0_j, .Lfunc_end24-_Z19shuffle_down_kernelILj32EdEvPT0_j
                                        ; -- End function
	.section	.AMDGPU.csdata,"",@progbits
; Kernel info:
; codeLenInByte = 156
; NumSgprs: 11
; NumVgprs: 7
; NumAgprs: 0
; TotalNumVgprs: 7
; ScratchSize: 0
; MemoryBound: 0
; FloatMode: 240
; IeeeMode: 1
; LDSByteSize: 0 bytes/workgroup (compile time only)
; SGPRBlocks: 1
; VGPRBlocks: 0
; NumSGPRsForWavesPerEU: 11
; NumVGPRsForWavesPerEU: 7
; AccumOffset: 8
; Occupancy: 8
; WaveLimiterHint : 0
; COMPUTE_PGM_RSRC2:SCRATCH_EN: 0
; COMPUTE_PGM_RSRC2:USER_SGPR: 6
; COMPUTE_PGM_RSRC2:TRAP_HANDLER: 0
; COMPUTE_PGM_RSRC2:TGID_X_EN: 1
; COMPUTE_PGM_RSRC2:TGID_Y_EN: 0
; COMPUTE_PGM_RSRC2:TGID_Z_EN: 0
; COMPUTE_PGM_RSRC2:TIDIG_COMP_CNT: 0
; COMPUTE_PGM_RSRC3_GFX90A:ACCUM_OFFSET: 1
; COMPUTE_PGM_RSRC3_GFX90A:TG_SPLIT: 0
	.section	.text._Z19shuffle_down_kernelILj32EfEvPT0_j,"axG",@progbits,_Z19shuffle_down_kernelILj32EfEvPT0_j,comdat
	.protected	_Z19shuffle_down_kernelILj32EfEvPT0_j ; -- Begin function _Z19shuffle_down_kernelILj32EfEvPT0_j
	.globl	_Z19shuffle_down_kernelILj32EfEvPT0_j
	.p2align	8
	.type	_Z19shuffle_down_kernelILj32EfEvPT0_j,@function
_Z19shuffle_down_kernelILj32EfEvPT0_j:  ; @_Z19shuffle_down_kernelILj32EfEvPT0_j
; %bb.0:
	s_load_dword s2, s[4:5], 0x1c
	s_load_dwordx2 s[0:1], s[4:5], 0x0
	s_load_dword s3, s[4:5], 0x8
	v_mov_b32_e32 v1, 0
	v_mbcnt_lo_u32_b32 v3, -1, 0
	s_waitcnt lgkmcnt(0)
	s_and_b32 s2, s2, 0xffff
	s_mul_i32 s6, s6, s2
	v_add_u32_e32 v0, s6, v0
	v_lshlrev_b64 v[0:1], 2, v[0:1]
	v_mov_b32_e32 v2, s1
	v_add_co_u32_e32 v0, vcc, s0, v0
	v_addc_co_u32_e32 v1, vcc, v2, v1, vcc
	global_load_dword v2, v[0:1], off
	v_mbcnt_hi_u32_b32 v3, -1, v3
	v_and_b32_e32 v4, 31, v3
	v_add_u32_e32 v4, s3, v4
	v_mov_b32_e32 v5, s3
	v_cmp_gt_i32_e32 vcc, 32, v4
	v_cndmask_b32_e32 v4, 0, v5, vcc
	v_add_lshl_u32 v3, v4, v3, 2
	s_waitcnt vmcnt(0)
	ds_bpermute_b32 v2, v3, v2
	s_waitcnt lgkmcnt(0)
	global_store_dword v[0:1], v2, off
	s_endpgm
	.section	.rodata,"a",@progbits
	.p2align	6, 0x0
	.amdhsa_kernel _Z19shuffle_down_kernelILj32EfEvPT0_j
		.amdhsa_group_segment_fixed_size 0
		.amdhsa_private_segment_fixed_size 0
		.amdhsa_kernarg_size 272
		.amdhsa_user_sgpr_count 6
		.amdhsa_user_sgpr_private_segment_buffer 1
		.amdhsa_user_sgpr_dispatch_ptr 0
		.amdhsa_user_sgpr_queue_ptr 0
		.amdhsa_user_sgpr_kernarg_segment_ptr 1
		.amdhsa_user_sgpr_dispatch_id 0
		.amdhsa_user_sgpr_flat_scratch_init 0
		.amdhsa_user_sgpr_kernarg_preload_length 0
		.amdhsa_user_sgpr_kernarg_preload_offset 0
		.amdhsa_user_sgpr_private_segment_size 0
		.amdhsa_uses_dynamic_stack 0
		.amdhsa_system_sgpr_private_segment_wavefront_offset 0
		.amdhsa_system_sgpr_workgroup_id_x 1
		.amdhsa_system_sgpr_workgroup_id_y 0
		.amdhsa_system_sgpr_workgroup_id_z 0
		.amdhsa_system_sgpr_workgroup_info 0
		.amdhsa_system_vgpr_workitem_id 0
		.amdhsa_next_free_vgpr 6
		.amdhsa_next_free_sgpr 7
		.amdhsa_accum_offset 8
		.amdhsa_reserve_vcc 1
		.amdhsa_reserve_flat_scratch 0
		.amdhsa_float_round_mode_32 0
		.amdhsa_float_round_mode_16_64 0
		.amdhsa_float_denorm_mode_32 3
		.amdhsa_float_denorm_mode_16_64 3
		.amdhsa_dx10_clamp 1
		.amdhsa_ieee_mode 1
		.amdhsa_fp16_overflow 0
		.amdhsa_tg_split 0
		.amdhsa_exception_fp_ieee_invalid_op 0
		.amdhsa_exception_fp_denorm_src 0
		.amdhsa_exception_fp_ieee_div_zero 0
		.amdhsa_exception_fp_ieee_overflow 0
		.amdhsa_exception_fp_ieee_underflow 0
		.amdhsa_exception_fp_ieee_inexact 0
		.amdhsa_exception_int_div_zero 0
	.end_amdhsa_kernel
	.section	.text._Z19shuffle_down_kernelILj32EfEvPT0_j,"axG",@progbits,_Z19shuffle_down_kernelILj32EfEvPT0_j,comdat
.Lfunc_end25:
	.size	_Z19shuffle_down_kernelILj32EfEvPT0_j, .Lfunc_end25-_Z19shuffle_down_kernelILj32EfEvPT0_j
                                        ; -- End function
	.section	.AMDGPU.csdata,"",@progbits
; Kernel info:
; codeLenInByte = 148
; NumSgprs: 11
; NumVgprs: 6
; NumAgprs: 0
; TotalNumVgprs: 6
; ScratchSize: 0
; MemoryBound: 0
; FloatMode: 240
; IeeeMode: 1
; LDSByteSize: 0 bytes/workgroup (compile time only)
; SGPRBlocks: 1
; VGPRBlocks: 0
; NumSGPRsForWavesPerEU: 11
; NumVGPRsForWavesPerEU: 6
; AccumOffset: 8
; Occupancy: 8
; WaveLimiterHint : 0
; COMPUTE_PGM_RSRC2:SCRATCH_EN: 0
; COMPUTE_PGM_RSRC2:USER_SGPR: 6
; COMPUTE_PGM_RSRC2:TRAP_HANDLER: 0
; COMPUTE_PGM_RSRC2:TGID_X_EN: 1
; COMPUTE_PGM_RSRC2:TGID_Y_EN: 0
; COMPUTE_PGM_RSRC2:TGID_Z_EN: 0
; COMPUTE_PGM_RSRC2:TIDIG_COMP_CNT: 0
; COMPUTE_PGM_RSRC3_GFX90A:ACCUM_OFFSET: 1
; COMPUTE_PGM_RSRC3_GFX90A:TG_SPLIT: 0
	.section	.text._Z19shuffle_down_kernelILj2EiEvPT0_j,"axG",@progbits,_Z19shuffle_down_kernelILj2EiEvPT0_j,comdat
	.protected	_Z19shuffle_down_kernelILj2EiEvPT0_j ; -- Begin function _Z19shuffle_down_kernelILj2EiEvPT0_j
	.globl	_Z19shuffle_down_kernelILj2EiEvPT0_j
	.p2align	8
	.type	_Z19shuffle_down_kernelILj2EiEvPT0_j,@function
_Z19shuffle_down_kernelILj2EiEvPT0_j:   ; @_Z19shuffle_down_kernelILj2EiEvPT0_j
; %bb.0:
	s_load_dword s2, s[4:5], 0x1c
	s_load_dwordx2 s[0:1], s[4:5], 0x0
	s_load_dword s3, s[4:5], 0x8
	v_mov_b32_e32 v1, 0
	v_mbcnt_lo_u32_b32 v3, -1, 0
	s_waitcnt lgkmcnt(0)
	s_and_b32 s2, s2, 0xffff
	s_mul_i32 s6, s6, s2
	v_add_u32_e32 v0, s6, v0
	v_lshlrev_b64 v[0:1], 2, v[0:1]
	v_mov_b32_e32 v2, s1
	v_add_co_u32_e32 v0, vcc, s0, v0
	v_addc_co_u32_e32 v1, vcc, v2, v1, vcc
	global_load_dword v2, v[0:1], off
	v_mbcnt_hi_u32_b32 v3, -1, v3
	v_and_b32_e32 v4, 1, v3
	v_add_u32_e32 v4, s3, v4
	v_mov_b32_e32 v5, s3
	v_cmp_gt_i32_e32 vcc, 2, v4
	v_cndmask_b32_e32 v4, 0, v5, vcc
	v_add_lshl_u32 v3, v4, v3, 2
	s_waitcnt vmcnt(0)
	ds_bpermute_b32 v2, v3, v2
	s_waitcnt lgkmcnt(0)
	global_store_dword v[0:1], v2, off
	s_endpgm
	.section	.rodata,"a",@progbits
	.p2align	6, 0x0
	.amdhsa_kernel _Z19shuffle_down_kernelILj2EiEvPT0_j
		.amdhsa_group_segment_fixed_size 0
		.amdhsa_private_segment_fixed_size 0
		.amdhsa_kernarg_size 272
		.amdhsa_user_sgpr_count 6
		.amdhsa_user_sgpr_private_segment_buffer 1
		.amdhsa_user_sgpr_dispatch_ptr 0
		.amdhsa_user_sgpr_queue_ptr 0
		.amdhsa_user_sgpr_kernarg_segment_ptr 1
		.amdhsa_user_sgpr_dispatch_id 0
		.amdhsa_user_sgpr_flat_scratch_init 0
		.amdhsa_user_sgpr_kernarg_preload_length 0
		.amdhsa_user_sgpr_kernarg_preload_offset 0
		.amdhsa_user_sgpr_private_segment_size 0
		.amdhsa_uses_dynamic_stack 0
		.amdhsa_system_sgpr_private_segment_wavefront_offset 0
		.amdhsa_system_sgpr_workgroup_id_x 1
		.amdhsa_system_sgpr_workgroup_id_y 0
		.amdhsa_system_sgpr_workgroup_id_z 0
		.amdhsa_system_sgpr_workgroup_info 0
		.amdhsa_system_vgpr_workitem_id 0
		.amdhsa_next_free_vgpr 6
		.amdhsa_next_free_sgpr 7
		.amdhsa_accum_offset 8
		.amdhsa_reserve_vcc 1
		.amdhsa_reserve_flat_scratch 0
		.amdhsa_float_round_mode_32 0
		.amdhsa_float_round_mode_16_64 0
		.amdhsa_float_denorm_mode_32 3
		.amdhsa_float_denorm_mode_16_64 3
		.amdhsa_dx10_clamp 1
		.amdhsa_ieee_mode 1
		.amdhsa_fp16_overflow 0
		.amdhsa_tg_split 0
		.amdhsa_exception_fp_ieee_invalid_op 0
		.amdhsa_exception_fp_denorm_src 0
		.amdhsa_exception_fp_ieee_div_zero 0
		.amdhsa_exception_fp_ieee_overflow 0
		.amdhsa_exception_fp_ieee_underflow 0
		.amdhsa_exception_fp_ieee_inexact 0
		.amdhsa_exception_int_div_zero 0
	.end_amdhsa_kernel
	.section	.text._Z19shuffle_down_kernelILj2EiEvPT0_j,"axG",@progbits,_Z19shuffle_down_kernelILj2EiEvPT0_j,comdat
.Lfunc_end26:
	.size	_Z19shuffle_down_kernelILj2EiEvPT0_j, .Lfunc_end26-_Z19shuffle_down_kernelILj2EiEvPT0_j
                                        ; -- End function
	.section	.AMDGPU.csdata,"",@progbits
; Kernel info:
; codeLenInByte = 148
; NumSgprs: 11
; NumVgprs: 6
; NumAgprs: 0
; TotalNumVgprs: 6
; ScratchSize: 0
; MemoryBound: 0
; FloatMode: 240
; IeeeMode: 1
; LDSByteSize: 0 bytes/workgroup (compile time only)
; SGPRBlocks: 1
; VGPRBlocks: 0
; NumSGPRsForWavesPerEU: 11
; NumVGPRsForWavesPerEU: 6
; AccumOffset: 8
; Occupancy: 8
; WaveLimiterHint : 0
; COMPUTE_PGM_RSRC2:SCRATCH_EN: 0
; COMPUTE_PGM_RSRC2:USER_SGPR: 6
; COMPUTE_PGM_RSRC2:TRAP_HANDLER: 0
; COMPUTE_PGM_RSRC2:TGID_X_EN: 1
; COMPUTE_PGM_RSRC2:TGID_Y_EN: 0
; COMPUTE_PGM_RSRC2:TGID_Z_EN: 0
; COMPUTE_PGM_RSRC2:TIDIG_COMP_CNT: 0
; COMPUTE_PGM_RSRC3_GFX90A:ACCUM_OFFSET: 1
; COMPUTE_PGM_RSRC3_GFX90A:TG_SPLIT: 0
	.section	.text._Z19shuffle_down_kernelILj4EiEvPT0_j,"axG",@progbits,_Z19shuffle_down_kernelILj4EiEvPT0_j,comdat
	.protected	_Z19shuffle_down_kernelILj4EiEvPT0_j ; -- Begin function _Z19shuffle_down_kernelILj4EiEvPT0_j
	.globl	_Z19shuffle_down_kernelILj4EiEvPT0_j
	.p2align	8
	.type	_Z19shuffle_down_kernelILj4EiEvPT0_j,@function
_Z19shuffle_down_kernelILj4EiEvPT0_j:   ; @_Z19shuffle_down_kernelILj4EiEvPT0_j
; %bb.0:
	s_load_dword s2, s[4:5], 0x1c
	s_load_dwordx2 s[0:1], s[4:5], 0x0
	s_load_dword s3, s[4:5], 0x8
	v_mov_b32_e32 v1, 0
	v_mbcnt_lo_u32_b32 v3, -1, 0
	s_waitcnt lgkmcnt(0)
	s_and_b32 s2, s2, 0xffff
	s_mul_i32 s6, s6, s2
	v_add_u32_e32 v0, s6, v0
	v_lshlrev_b64 v[0:1], 2, v[0:1]
	v_mov_b32_e32 v2, s1
	v_add_co_u32_e32 v0, vcc, s0, v0
	v_addc_co_u32_e32 v1, vcc, v2, v1, vcc
	global_load_dword v2, v[0:1], off
	v_mbcnt_hi_u32_b32 v3, -1, v3
	v_and_b32_e32 v4, 3, v3
	v_add_u32_e32 v4, s3, v4
	v_mov_b32_e32 v5, s3
	v_cmp_gt_i32_e32 vcc, 4, v4
	v_cndmask_b32_e32 v4, 0, v5, vcc
	v_add_lshl_u32 v3, v4, v3, 2
	s_waitcnt vmcnt(0)
	ds_bpermute_b32 v2, v3, v2
	s_waitcnt lgkmcnt(0)
	global_store_dword v[0:1], v2, off
	s_endpgm
	.section	.rodata,"a",@progbits
	.p2align	6, 0x0
	.amdhsa_kernel _Z19shuffle_down_kernelILj4EiEvPT0_j
		.amdhsa_group_segment_fixed_size 0
		.amdhsa_private_segment_fixed_size 0
		.amdhsa_kernarg_size 272
		.amdhsa_user_sgpr_count 6
		.amdhsa_user_sgpr_private_segment_buffer 1
		.amdhsa_user_sgpr_dispatch_ptr 0
		.amdhsa_user_sgpr_queue_ptr 0
		.amdhsa_user_sgpr_kernarg_segment_ptr 1
		.amdhsa_user_sgpr_dispatch_id 0
		.amdhsa_user_sgpr_flat_scratch_init 0
		.amdhsa_user_sgpr_kernarg_preload_length 0
		.amdhsa_user_sgpr_kernarg_preload_offset 0
		.amdhsa_user_sgpr_private_segment_size 0
		.amdhsa_uses_dynamic_stack 0
		.amdhsa_system_sgpr_private_segment_wavefront_offset 0
		.amdhsa_system_sgpr_workgroup_id_x 1
		.amdhsa_system_sgpr_workgroup_id_y 0
		.amdhsa_system_sgpr_workgroup_id_z 0
		.amdhsa_system_sgpr_workgroup_info 0
		.amdhsa_system_vgpr_workitem_id 0
		.amdhsa_next_free_vgpr 6
		.amdhsa_next_free_sgpr 7
		.amdhsa_accum_offset 8
		.amdhsa_reserve_vcc 1
		.amdhsa_reserve_flat_scratch 0
		.amdhsa_float_round_mode_32 0
		.amdhsa_float_round_mode_16_64 0
		.amdhsa_float_denorm_mode_32 3
		.amdhsa_float_denorm_mode_16_64 3
		.amdhsa_dx10_clamp 1
		.amdhsa_ieee_mode 1
		.amdhsa_fp16_overflow 0
		.amdhsa_tg_split 0
		.amdhsa_exception_fp_ieee_invalid_op 0
		.amdhsa_exception_fp_denorm_src 0
		.amdhsa_exception_fp_ieee_div_zero 0
		.amdhsa_exception_fp_ieee_overflow 0
		.amdhsa_exception_fp_ieee_underflow 0
		.amdhsa_exception_fp_ieee_inexact 0
		.amdhsa_exception_int_div_zero 0
	.end_amdhsa_kernel
	.section	.text._Z19shuffle_down_kernelILj4EiEvPT0_j,"axG",@progbits,_Z19shuffle_down_kernelILj4EiEvPT0_j,comdat
.Lfunc_end27:
	.size	_Z19shuffle_down_kernelILj4EiEvPT0_j, .Lfunc_end27-_Z19shuffle_down_kernelILj4EiEvPT0_j
                                        ; -- End function
	.section	.AMDGPU.csdata,"",@progbits
; Kernel info:
; codeLenInByte = 148
; NumSgprs: 11
; NumVgprs: 6
; NumAgprs: 0
; TotalNumVgprs: 6
; ScratchSize: 0
; MemoryBound: 0
; FloatMode: 240
; IeeeMode: 1
; LDSByteSize: 0 bytes/workgroup (compile time only)
; SGPRBlocks: 1
; VGPRBlocks: 0
; NumSGPRsForWavesPerEU: 11
; NumVGPRsForWavesPerEU: 6
; AccumOffset: 8
; Occupancy: 8
; WaveLimiterHint : 0
; COMPUTE_PGM_RSRC2:SCRATCH_EN: 0
; COMPUTE_PGM_RSRC2:USER_SGPR: 6
; COMPUTE_PGM_RSRC2:TRAP_HANDLER: 0
; COMPUTE_PGM_RSRC2:TGID_X_EN: 1
; COMPUTE_PGM_RSRC2:TGID_Y_EN: 0
; COMPUTE_PGM_RSRC2:TGID_Z_EN: 0
; COMPUTE_PGM_RSRC2:TIDIG_COMP_CNT: 0
; COMPUTE_PGM_RSRC3_GFX90A:ACCUM_OFFSET: 1
; COMPUTE_PGM_RSRC3_GFX90A:TG_SPLIT: 0
	.section	.text._Z19shuffle_down_kernelILj8EiEvPT0_j,"axG",@progbits,_Z19shuffle_down_kernelILj8EiEvPT0_j,comdat
	.protected	_Z19shuffle_down_kernelILj8EiEvPT0_j ; -- Begin function _Z19shuffle_down_kernelILj8EiEvPT0_j
	.globl	_Z19shuffle_down_kernelILj8EiEvPT0_j
	.p2align	8
	.type	_Z19shuffle_down_kernelILj8EiEvPT0_j,@function
_Z19shuffle_down_kernelILj8EiEvPT0_j:   ; @_Z19shuffle_down_kernelILj8EiEvPT0_j
; %bb.0:
	s_load_dword s2, s[4:5], 0x1c
	s_load_dwordx2 s[0:1], s[4:5], 0x0
	s_load_dword s3, s[4:5], 0x8
	v_mov_b32_e32 v1, 0
	v_mbcnt_lo_u32_b32 v3, -1, 0
	s_waitcnt lgkmcnt(0)
	s_and_b32 s2, s2, 0xffff
	s_mul_i32 s6, s6, s2
	v_add_u32_e32 v0, s6, v0
	v_lshlrev_b64 v[0:1], 2, v[0:1]
	v_mov_b32_e32 v2, s1
	v_add_co_u32_e32 v0, vcc, s0, v0
	v_addc_co_u32_e32 v1, vcc, v2, v1, vcc
	global_load_dword v2, v[0:1], off
	v_mbcnt_hi_u32_b32 v3, -1, v3
	v_and_b32_e32 v4, 7, v3
	v_add_u32_e32 v4, s3, v4
	v_mov_b32_e32 v5, s3
	v_cmp_gt_i32_e32 vcc, 8, v4
	v_cndmask_b32_e32 v4, 0, v5, vcc
	v_add_lshl_u32 v3, v4, v3, 2
	s_waitcnt vmcnt(0)
	ds_bpermute_b32 v2, v3, v2
	s_waitcnt lgkmcnt(0)
	global_store_dword v[0:1], v2, off
	s_endpgm
	.section	.rodata,"a",@progbits
	.p2align	6, 0x0
	.amdhsa_kernel _Z19shuffle_down_kernelILj8EiEvPT0_j
		.amdhsa_group_segment_fixed_size 0
		.amdhsa_private_segment_fixed_size 0
		.amdhsa_kernarg_size 272
		.amdhsa_user_sgpr_count 6
		.amdhsa_user_sgpr_private_segment_buffer 1
		.amdhsa_user_sgpr_dispatch_ptr 0
		.amdhsa_user_sgpr_queue_ptr 0
		.amdhsa_user_sgpr_kernarg_segment_ptr 1
		.amdhsa_user_sgpr_dispatch_id 0
		.amdhsa_user_sgpr_flat_scratch_init 0
		.amdhsa_user_sgpr_kernarg_preload_length 0
		.amdhsa_user_sgpr_kernarg_preload_offset 0
		.amdhsa_user_sgpr_private_segment_size 0
		.amdhsa_uses_dynamic_stack 0
		.amdhsa_system_sgpr_private_segment_wavefront_offset 0
		.amdhsa_system_sgpr_workgroup_id_x 1
		.amdhsa_system_sgpr_workgroup_id_y 0
		.amdhsa_system_sgpr_workgroup_id_z 0
		.amdhsa_system_sgpr_workgroup_info 0
		.amdhsa_system_vgpr_workitem_id 0
		.amdhsa_next_free_vgpr 6
		.amdhsa_next_free_sgpr 7
		.amdhsa_accum_offset 8
		.amdhsa_reserve_vcc 1
		.amdhsa_reserve_flat_scratch 0
		.amdhsa_float_round_mode_32 0
		.amdhsa_float_round_mode_16_64 0
		.amdhsa_float_denorm_mode_32 3
		.amdhsa_float_denorm_mode_16_64 3
		.amdhsa_dx10_clamp 1
		.amdhsa_ieee_mode 1
		.amdhsa_fp16_overflow 0
		.amdhsa_tg_split 0
		.amdhsa_exception_fp_ieee_invalid_op 0
		.amdhsa_exception_fp_denorm_src 0
		.amdhsa_exception_fp_ieee_div_zero 0
		.amdhsa_exception_fp_ieee_overflow 0
		.amdhsa_exception_fp_ieee_underflow 0
		.amdhsa_exception_fp_ieee_inexact 0
		.amdhsa_exception_int_div_zero 0
	.end_amdhsa_kernel
	.section	.text._Z19shuffle_down_kernelILj8EiEvPT0_j,"axG",@progbits,_Z19shuffle_down_kernelILj8EiEvPT0_j,comdat
.Lfunc_end28:
	.size	_Z19shuffle_down_kernelILj8EiEvPT0_j, .Lfunc_end28-_Z19shuffle_down_kernelILj8EiEvPT0_j
                                        ; -- End function
	.section	.AMDGPU.csdata,"",@progbits
; Kernel info:
; codeLenInByte = 148
; NumSgprs: 11
; NumVgprs: 6
; NumAgprs: 0
; TotalNumVgprs: 6
; ScratchSize: 0
; MemoryBound: 0
; FloatMode: 240
; IeeeMode: 1
; LDSByteSize: 0 bytes/workgroup (compile time only)
; SGPRBlocks: 1
; VGPRBlocks: 0
; NumSGPRsForWavesPerEU: 11
; NumVGPRsForWavesPerEU: 6
; AccumOffset: 8
; Occupancy: 8
; WaveLimiterHint : 0
; COMPUTE_PGM_RSRC2:SCRATCH_EN: 0
; COMPUTE_PGM_RSRC2:USER_SGPR: 6
; COMPUTE_PGM_RSRC2:TRAP_HANDLER: 0
; COMPUTE_PGM_RSRC2:TGID_X_EN: 1
; COMPUTE_PGM_RSRC2:TGID_Y_EN: 0
; COMPUTE_PGM_RSRC2:TGID_Z_EN: 0
; COMPUTE_PGM_RSRC2:TIDIG_COMP_CNT: 0
; COMPUTE_PGM_RSRC3_GFX90A:ACCUM_OFFSET: 1
; COMPUTE_PGM_RSRC3_GFX90A:TG_SPLIT: 0
	.section	.text._Z19shuffle_down_kernelILj16EiEvPT0_j,"axG",@progbits,_Z19shuffle_down_kernelILj16EiEvPT0_j,comdat
	.protected	_Z19shuffle_down_kernelILj16EiEvPT0_j ; -- Begin function _Z19shuffle_down_kernelILj16EiEvPT0_j
	.globl	_Z19shuffle_down_kernelILj16EiEvPT0_j
	.p2align	8
	.type	_Z19shuffle_down_kernelILj16EiEvPT0_j,@function
_Z19shuffle_down_kernelILj16EiEvPT0_j:  ; @_Z19shuffle_down_kernelILj16EiEvPT0_j
; %bb.0:
	s_load_dword s2, s[4:5], 0x1c
	s_load_dwordx2 s[0:1], s[4:5], 0x0
	s_load_dword s3, s[4:5], 0x8
	v_mov_b32_e32 v1, 0
	v_mbcnt_lo_u32_b32 v3, -1, 0
	s_waitcnt lgkmcnt(0)
	s_and_b32 s2, s2, 0xffff
	s_mul_i32 s6, s6, s2
	v_add_u32_e32 v0, s6, v0
	v_lshlrev_b64 v[0:1], 2, v[0:1]
	v_mov_b32_e32 v2, s1
	v_add_co_u32_e32 v0, vcc, s0, v0
	v_addc_co_u32_e32 v1, vcc, v2, v1, vcc
	global_load_dword v2, v[0:1], off
	v_mbcnt_hi_u32_b32 v3, -1, v3
	v_and_b32_e32 v4, 15, v3
	v_add_u32_e32 v4, s3, v4
	v_mov_b32_e32 v5, s3
	v_cmp_gt_i32_e32 vcc, 16, v4
	v_cndmask_b32_e32 v4, 0, v5, vcc
	v_add_lshl_u32 v3, v4, v3, 2
	s_waitcnt vmcnt(0)
	ds_bpermute_b32 v2, v3, v2
	s_waitcnt lgkmcnt(0)
	global_store_dword v[0:1], v2, off
	s_endpgm
	.section	.rodata,"a",@progbits
	.p2align	6, 0x0
	.amdhsa_kernel _Z19shuffle_down_kernelILj16EiEvPT0_j
		.amdhsa_group_segment_fixed_size 0
		.amdhsa_private_segment_fixed_size 0
		.amdhsa_kernarg_size 272
		.amdhsa_user_sgpr_count 6
		.amdhsa_user_sgpr_private_segment_buffer 1
		.amdhsa_user_sgpr_dispatch_ptr 0
		.amdhsa_user_sgpr_queue_ptr 0
		.amdhsa_user_sgpr_kernarg_segment_ptr 1
		.amdhsa_user_sgpr_dispatch_id 0
		.amdhsa_user_sgpr_flat_scratch_init 0
		.amdhsa_user_sgpr_kernarg_preload_length 0
		.amdhsa_user_sgpr_kernarg_preload_offset 0
		.amdhsa_user_sgpr_private_segment_size 0
		.amdhsa_uses_dynamic_stack 0
		.amdhsa_system_sgpr_private_segment_wavefront_offset 0
		.amdhsa_system_sgpr_workgroup_id_x 1
		.amdhsa_system_sgpr_workgroup_id_y 0
		.amdhsa_system_sgpr_workgroup_id_z 0
		.amdhsa_system_sgpr_workgroup_info 0
		.amdhsa_system_vgpr_workitem_id 0
		.amdhsa_next_free_vgpr 6
		.amdhsa_next_free_sgpr 7
		.amdhsa_accum_offset 8
		.amdhsa_reserve_vcc 1
		.amdhsa_reserve_flat_scratch 0
		.amdhsa_float_round_mode_32 0
		.amdhsa_float_round_mode_16_64 0
		.amdhsa_float_denorm_mode_32 3
		.amdhsa_float_denorm_mode_16_64 3
		.amdhsa_dx10_clamp 1
		.amdhsa_ieee_mode 1
		.amdhsa_fp16_overflow 0
		.amdhsa_tg_split 0
		.amdhsa_exception_fp_ieee_invalid_op 0
		.amdhsa_exception_fp_denorm_src 0
		.amdhsa_exception_fp_ieee_div_zero 0
		.amdhsa_exception_fp_ieee_overflow 0
		.amdhsa_exception_fp_ieee_underflow 0
		.amdhsa_exception_fp_ieee_inexact 0
		.amdhsa_exception_int_div_zero 0
	.end_amdhsa_kernel
	.section	.text._Z19shuffle_down_kernelILj16EiEvPT0_j,"axG",@progbits,_Z19shuffle_down_kernelILj16EiEvPT0_j,comdat
.Lfunc_end29:
	.size	_Z19shuffle_down_kernelILj16EiEvPT0_j, .Lfunc_end29-_Z19shuffle_down_kernelILj16EiEvPT0_j
                                        ; -- End function
	.section	.AMDGPU.csdata,"",@progbits
; Kernel info:
; codeLenInByte = 148
; NumSgprs: 11
; NumVgprs: 6
; NumAgprs: 0
; TotalNumVgprs: 6
; ScratchSize: 0
; MemoryBound: 0
; FloatMode: 240
; IeeeMode: 1
; LDSByteSize: 0 bytes/workgroup (compile time only)
; SGPRBlocks: 1
; VGPRBlocks: 0
; NumSGPRsForWavesPerEU: 11
; NumVGPRsForWavesPerEU: 6
; AccumOffset: 8
; Occupancy: 8
; WaveLimiterHint : 0
; COMPUTE_PGM_RSRC2:SCRATCH_EN: 0
; COMPUTE_PGM_RSRC2:USER_SGPR: 6
; COMPUTE_PGM_RSRC2:TRAP_HANDLER: 0
; COMPUTE_PGM_RSRC2:TGID_X_EN: 1
; COMPUTE_PGM_RSRC2:TGID_Y_EN: 0
; COMPUTE_PGM_RSRC2:TGID_Z_EN: 0
; COMPUTE_PGM_RSRC2:TIDIG_COMP_CNT: 0
; COMPUTE_PGM_RSRC3_GFX90A:ACCUM_OFFSET: 1
; COMPUTE_PGM_RSRC3_GFX90A:TG_SPLIT: 0
	.section	.text._Z19shuffle_down_kernelILj32EiEvPT0_j,"axG",@progbits,_Z19shuffle_down_kernelILj32EiEvPT0_j,comdat
	.protected	_Z19shuffle_down_kernelILj32EiEvPT0_j ; -- Begin function _Z19shuffle_down_kernelILj32EiEvPT0_j
	.globl	_Z19shuffle_down_kernelILj32EiEvPT0_j
	.p2align	8
	.type	_Z19shuffle_down_kernelILj32EiEvPT0_j,@function
_Z19shuffle_down_kernelILj32EiEvPT0_j:  ; @_Z19shuffle_down_kernelILj32EiEvPT0_j
; %bb.0:
	s_load_dword s2, s[4:5], 0x1c
	s_load_dwordx2 s[0:1], s[4:5], 0x0
	s_load_dword s3, s[4:5], 0x8
	v_mov_b32_e32 v1, 0
	v_mbcnt_lo_u32_b32 v3, -1, 0
	s_waitcnt lgkmcnt(0)
	s_and_b32 s2, s2, 0xffff
	s_mul_i32 s6, s6, s2
	v_add_u32_e32 v0, s6, v0
	v_lshlrev_b64 v[0:1], 2, v[0:1]
	v_mov_b32_e32 v2, s1
	v_add_co_u32_e32 v0, vcc, s0, v0
	v_addc_co_u32_e32 v1, vcc, v2, v1, vcc
	global_load_dword v2, v[0:1], off
	v_mbcnt_hi_u32_b32 v3, -1, v3
	v_and_b32_e32 v4, 31, v3
	v_add_u32_e32 v4, s3, v4
	v_mov_b32_e32 v5, s3
	v_cmp_gt_i32_e32 vcc, 32, v4
	v_cndmask_b32_e32 v4, 0, v5, vcc
	v_add_lshl_u32 v3, v4, v3, 2
	s_waitcnt vmcnt(0)
	ds_bpermute_b32 v2, v3, v2
	s_waitcnt lgkmcnt(0)
	global_store_dword v[0:1], v2, off
	s_endpgm
	.section	.rodata,"a",@progbits
	.p2align	6, 0x0
	.amdhsa_kernel _Z19shuffle_down_kernelILj32EiEvPT0_j
		.amdhsa_group_segment_fixed_size 0
		.amdhsa_private_segment_fixed_size 0
		.amdhsa_kernarg_size 272
		.amdhsa_user_sgpr_count 6
		.amdhsa_user_sgpr_private_segment_buffer 1
		.amdhsa_user_sgpr_dispatch_ptr 0
		.amdhsa_user_sgpr_queue_ptr 0
		.amdhsa_user_sgpr_kernarg_segment_ptr 1
		.amdhsa_user_sgpr_dispatch_id 0
		.amdhsa_user_sgpr_flat_scratch_init 0
		.amdhsa_user_sgpr_kernarg_preload_length 0
		.amdhsa_user_sgpr_kernarg_preload_offset 0
		.amdhsa_user_sgpr_private_segment_size 0
		.amdhsa_uses_dynamic_stack 0
		.amdhsa_system_sgpr_private_segment_wavefront_offset 0
		.amdhsa_system_sgpr_workgroup_id_x 1
		.amdhsa_system_sgpr_workgroup_id_y 0
		.amdhsa_system_sgpr_workgroup_id_z 0
		.amdhsa_system_sgpr_workgroup_info 0
		.amdhsa_system_vgpr_workitem_id 0
		.amdhsa_next_free_vgpr 6
		.amdhsa_next_free_sgpr 7
		.amdhsa_accum_offset 8
		.amdhsa_reserve_vcc 1
		.amdhsa_reserve_flat_scratch 0
		.amdhsa_float_round_mode_32 0
		.amdhsa_float_round_mode_16_64 0
		.amdhsa_float_denorm_mode_32 3
		.amdhsa_float_denorm_mode_16_64 3
		.amdhsa_dx10_clamp 1
		.amdhsa_ieee_mode 1
		.amdhsa_fp16_overflow 0
		.amdhsa_tg_split 0
		.amdhsa_exception_fp_ieee_invalid_op 0
		.amdhsa_exception_fp_denorm_src 0
		.amdhsa_exception_fp_ieee_div_zero 0
		.amdhsa_exception_fp_ieee_overflow 0
		.amdhsa_exception_fp_ieee_underflow 0
		.amdhsa_exception_fp_ieee_inexact 0
		.amdhsa_exception_int_div_zero 0
	.end_amdhsa_kernel
	.section	.text._Z19shuffle_down_kernelILj32EiEvPT0_j,"axG",@progbits,_Z19shuffle_down_kernelILj32EiEvPT0_j,comdat
.Lfunc_end30:
	.size	_Z19shuffle_down_kernelILj32EiEvPT0_j, .Lfunc_end30-_Z19shuffle_down_kernelILj32EiEvPT0_j
                                        ; -- End function
	.section	.AMDGPU.csdata,"",@progbits
; Kernel info:
; codeLenInByte = 148
; NumSgprs: 11
; NumVgprs: 6
; NumAgprs: 0
; TotalNumVgprs: 6
; ScratchSize: 0
; MemoryBound: 0
; FloatMode: 240
; IeeeMode: 1
; LDSByteSize: 0 bytes/workgroup (compile time only)
; SGPRBlocks: 1
; VGPRBlocks: 0
; NumSGPRsForWavesPerEU: 11
; NumVGPRsForWavesPerEU: 6
; AccumOffset: 8
; Occupancy: 8
; WaveLimiterHint : 0
; COMPUTE_PGM_RSRC2:SCRATCH_EN: 0
; COMPUTE_PGM_RSRC2:USER_SGPR: 6
; COMPUTE_PGM_RSRC2:TRAP_HANDLER: 0
; COMPUTE_PGM_RSRC2:TGID_X_EN: 1
; COMPUTE_PGM_RSRC2:TGID_Y_EN: 0
; COMPUTE_PGM_RSRC2:TGID_Z_EN: 0
; COMPUTE_PGM_RSRC2:TIDIG_COMP_CNT: 0
; COMPUTE_PGM_RSRC3_GFX90A:ACCUM_OFFSET: 1
; COMPUTE_PGM_RSRC3_GFX90A:TG_SPLIT: 0
	.section	.text._Z20shuffle_index_kernelILj64E12hip_bfloat16EvPT0_Pi,"axG",@progbits,_Z20shuffle_index_kernelILj64E12hip_bfloat16EvPT0_Pi,comdat
	.protected	_Z20shuffle_index_kernelILj64E12hip_bfloat16EvPT0_Pi ; -- Begin function _Z20shuffle_index_kernelILj64E12hip_bfloat16EvPT0_Pi
	.globl	_Z20shuffle_index_kernelILj64E12hip_bfloat16EvPT0_Pi
	.p2align	8
	.type	_Z20shuffle_index_kernelILj64E12hip_bfloat16EvPT0_Pi,@function
_Z20shuffle_index_kernelILj64E12hip_bfloat16EvPT0_Pi: ; @_Z20shuffle_index_kernelILj64E12hip_bfloat16EvPT0_Pi
; %bb.0:
	s_load_dword s7, s[4:5], 0x1c
	s_load_dwordx4 s[0:3], s[4:5], 0x0
	v_mov_b32_e32 v3, 0
	s_waitcnt lgkmcnt(0)
	s_and_b32 s4, s7, 0xffff
	s_mul_i32 s6, s6, s4
	v_add_u32_e32 v2, s6, v0
	v_lshrrev_b32_e32 v0, 4, v0
	v_and_b32_e32 v0, 60, v0
	v_lshlrev_b64 v[2:3], 1, v[2:3]
	global_load_dword v4, v0, s[2:3]
	v_mov_b32_e32 v1, s1
	v_add_co_u32_e32 v0, vcc, s0, v2
	v_addc_co_u32_e32 v1, vcc, v1, v3, vcc
	global_load_ushort v2, v[0:1], off
	v_mbcnt_lo_u32_b32 v3, -1, 0
	v_mbcnt_hi_u32_b32 v3, -1, v3
	s_waitcnt vmcnt(1)
	v_and_b32_e32 v4, 63, v4
	v_and_or_b32 v3, v3, 64, v4
	v_lshlrev_b32_e32 v3, 2, v3
	s_waitcnt vmcnt(0)
	ds_bpermute_b32 v2, v3, v2
	s_waitcnt lgkmcnt(0)
	global_store_short v[0:1], v2, off
	s_endpgm
	.section	.rodata,"a",@progbits
	.p2align	6, 0x0
	.amdhsa_kernel _Z20shuffle_index_kernelILj64E12hip_bfloat16EvPT0_Pi
		.amdhsa_group_segment_fixed_size 0
		.amdhsa_private_segment_fixed_size 0
		.amdhsa_kernarg_size 272
		.amdhsa_user_sgpr_count 6
		.amdhsa_user_sgpr_private_segment_buffer 1
		.amdhsa_user_sgpr_dispatch_ptr 0
		.amdhsa_user_sgpr_queue_ptr 0
		.amdhsa_user_sgpr_kernarg_segment_ptr 1
		.amdhsa_user_sgpr_dispatch_id 0
		.amdhsa_user_sgpr_flat_scratch_init 0
		.amdhsa_user_sgpr_kernarg_preload_length 0
		.amdhsa_user_sgpr_kernarg_preload_offset 0
		.amdhsa_user_sgpr_private_segment_size 0
		.amdhsa_uses_dynamic_stack 0
		.amdhsa_system_sgpr_private_segment_wavefront_offset 0
		.amdhsa_system_sgpr_workgroup_id_x 1
		.amdhsa_system_sgpr_workgroup_id_y 0
		.amdhsa_system_sgpr_workgroup_id_z 0
		.amdhsa_system_sgpr_workgroup_info 0
		.amdhsa_system_vgpr_workitem_id 0
		.amdhsa_next_free_vgpr 5
		.amdhsa_next_free_sgpr 8
		.amdhsa_accum_offset 8
		.amdhsa_reserve_vcc 1
		.amdhsa_reserve_flat_scratch 0
		.amdhsa_float_round_mode_32 0
		.amdhsa_float_round_mode_16_64 0
		.amdhsa_float_denorm_mode_32 3
		.amdhsa_float_denorm_mode_16_64 3
		.amdhsa_dx10_clamp 1
		.amdhsa_ieee_mode 1
		.amdhsa_fp16_overflow 0
		.amdhsa_tg_split 0
		.amdhsa_exception_fp_ieee_invalid_op 0
		.amdhsa_exception_fp_denorm_src 0
		.amdhsa_exception_fp_ieee_div_zero 0
		.amdhsa_exception_fp_ieee_overflow 0
		.amdhsa_exception_fp_ieee_underflow 0
		.amdhsa_exception_fp_ieee_inexact 0
		.amdhsa_exception_int_div_zero 0
	.end_amdhsa_kernel
	.section	.text._Z20shuffle_index_kernelILj64E12hip_bfloat16EvPT0_Pi,"axG",@progbits,_Z20shuffle_index_kernelILj64E12hip_bfloat16EvPT0_Pi,comdat
.Lfunc_end31:
	.size	_Z20shuffle_index_kernelILj64E12hip_bfloat16EvPT0_Pi, .Lfunc_end31-_Z20shuffle_index_kernelILj64E12hip_bfloat16EvPT0_Pi
                                        ; -- End function
	.section	.AMDGPU.csdata,"",@progbits
; Kernel info:
; codeLenInByte = 148
; NumSgprs: 12
; NumVgprs: 5
; NumAgprs: 0
; TotalNumVgprs: 5
; ScratchSize: 0
; MemoryBound: 0
; FloatMode: 240
; IeeeMode: 1
; LDSByteSize: 0 bytes/workgroup (compile time only)
; SGPRBlocks: 1
; VGPRBlocks: 0
; NumSGPRsForWavesPerEU: 12
; NumVGPRsForWavesPerEU: 5
; AccumOffset: 8
; Occupancy: 8
; WaveLimiterHint : 0
; COMPUTE_PGM_RSRC2:SCRATCH_EN: 0
; COMPUTE_PGM_RSRC2:USER_SGPR: 6
; COMPUTE_PGM_RSRC2:TRAP_HANDLER: 0
; COMPUTE_PGM_RSRC2:TGID_X_EN: 1
; COMPUTE_PGM_RSRC2:TGID_Y_EN: 0
; COMPUTE_PGM_RSRC2:TGID_Z_EN: 0
; COMPUTE_PGM_RSRC2:TIDIG_COMP_CNT: 0
; COMPUTE_PGM_RSRC3_GFX90A:ACCUM_OFFSET: 1
; COMPUTE_PGM_RSRC3_GFX90A:TG_SPLIT: 0
	.section	.text._Z20shuffle_index_kernelILj64E6__halfEvPT0_Pi,"axG",@progbits,_Z20shuffle_index_kernelILj64E6__halfEvPT0_Pi,comdat
	.protected	_Z20shuffle_index_kernelILj64E6__halfEvPT0_Pi ; -- Begin function _Z20shuffle_index_kernelILj64E6__halfEvPT0_Pi
	.globl	_Z20shuffle_index_kernelILj64E6__halfEvPT0_Pi
	.p2align	8
	.type	_Z20shuffle_index_kernelILj64E6__halfEvPT0_Pi,@function
_Z20shuffle_index_kernelILj64E6__halfEvPT0_Pi: ; @_Z20shuffle_index_kernelILj64E6__halfEvPT0_Pi
; %bb.0:
	s_load_dword s7, s[4:5], 0x1c
	s_load_dwordx4 s[0:3], s[4:5], 0x0
	v_mov_b32_e32 v3, 0
	s_waitcnt lgkmcnt(0)
	s_and_b32 s4, s7, 0xffff
	s_mul_i32 s6, s6, s4
	v_add_u32_e32 v2, s6, v0
	v_lshrrev_b32_e32 v0, 4, v0
	v_and_b32_e32 v0, 60, v0
	v_lshlrev_b64 v[2:3], 1, v[2:3]
	global_load_dword v4, v0, s[2:3]
	v_mov_b32_e32 v1, s1
	v_add_co_u32_e32 v0, vcc, s0, v2
	v_addc_co_u32_e32 v1, vcc, v1, v3, vcc
	global_load_ushort v2, v[0:1], off
	v_mbcnt_lo_u32_b32 v3, -1, 0
	v_mbcnt_hi_u32_b32 v3, -1, v3
	s_waitcnt vmcnt(1)
	v_and_b32_e32 v4, 63, v4
	v_and_or_b32 v3, v3, 64, v4
	v_lshlrev_b32_e32 v3, 2, v3
	s_waitcnt vmcnt(0)
	ds_bpermute_b32 v2, v3, v2
	s_waitcnt lgkmcnt(0)
	global_store_short v[0:1], v2, off
	s_endpgm
	.section	.rodata,"a",@progbits
	.p2align	6, 0x0
	.amdhsa_kernel _Z20shuffle_index_kernelILj64E6__halfEvPT0_Pi
		.amdhsa_group_segment_fixed_size 0
		.amdhsa_private_segment_fixed_size 0
		.amdhsa_kernarg_size 272
		.amdhsa_user_sgpr_count 6
		.amdhsa_user_sgpr_private_segment_buffer 1
		.amdhsa_user_sgpr_dispatch_ptr 0
		.amdhsa_user_sgpr_queue_ptr 0
		.amdhsa_user_sgpr_kernarg_segment_ptr 1
		.amdhsa_user_sgpr_dispatch_id 0
		.amdhsa_user_sgpr_flat_scratch_init 0
		.amdhsa_user_sgpr_kernarg_preload_length 0
		.amdhsa_user_sgpr_kernarg_preload_offset 0
		.amdhsa_user_sgpr_private_segment_size 0
		.amdhsa_uses_dynamic_stack 0
		.amdhsa_system_sgpr_private_segment_wavefront_offset 0
		.amdhsa_system_sgpr_workgroup_id_x 1
		.amdhsa_system_sgpr_workgroup_id_y 0
		.amdhsa_system_sgpr_workgroup_id_z 0
		.amdhsa_system_sgpr_workgroup_info 0
		.amdhsa_system_vgpr_workitem_id 0
		.amdhsa_next_free_vgpr 5
		.amdhsa_next_free_sgpr 8
		.amdhsa_accum_offset 8
		.amdhsa_reserve_vcc 1
		.amdhsa_reserve_flat_scratch 0
		.amdhsa_float_round_mode_32 0
		.amdhsa_float_round_mode_16_64 0
		.amdhsa_float_denorm_mode_32 3
		.amdhsa_float_denorm_mode_16_64 3
		.amdhsa_dx10_clamp 1
		.amdhsa_ieee_mode 1
		.amdhsa_fp16_overflow 0
		.amdhsa_tg_split 0
		.amdhsa_exception_fp_ieee_invalid_op 0
		.amdhsa_exception_fp_denorm_src 0
		.amdhsa_exception_fp_ieee_div_zero 0
		.amdhsa_exception_fp_ieee_overflow 0
		.amdhsa_exception_fp_ieee_underflow 0
		.amdhsa_exception_fp_ieee_inexact 0
		.amdhsa_exception_int_div_zero 0
	.end_amdhsa_kernel
	.section	.text._Z20shuffle_index_kernelILj64E6__halfEvPT0_Pi,"axG",@progbits,_Z20shuffle_index_kernelILj64E6__halfEvPT0_Pi,comdat
.Lfunc_end32:
	.size	_Z20shuffle_index_kernelILj64E6__halfEvPT0_Pi, .Lfunc_end32-_Z20shuffle_index_kernelILj64E6__halfEvPT0_Pi
                                        ; -- End function
	.section	.AMDGPU.csdata,"",@progbits
; Kernel info:
; codeLenInByte = 148
; NumSgprs: 12
; NumVgprs: 5
; NumAgprs: 0
; TotalNumVgprs: 5
; ScratchSize: 0
; MemoryBound: 0
; FloatMode: 240
; IeeeMode: 1
; LDSByteSize: 0 bytes/workgroup (compile time only)
; SGPRBlocks: 1
; VGPRBlocks: 0
; NumSGPRsForWavesPerEU: 12
; NumVGPRsForWavesPerEU: 5
; AccumOffset: 8
; Occupancy: 8
; WaveLimiterHint : 0
; COMPUTE_PGM_RSRC2:SCRATCH_EN: 0
; COMPUTE_PGM_RSRC2:USER_SGPR: 6
; COMPUTE_PGM_RSRC2:TRAP_HANDLER: 0
; COMPUTE_PGM_RSRC2:TGID_X_EN: 1
; COMPUTE_PGM_RSRC2:TGID_Y_EN: 0
; COMPUTE_PGM_RSRC2:TGID_Z_EN: 0
; COMPUTE_PGM_RSRC2:TIDIG_COMP_CNT: 0
; COMPUTE_PGM_RSRC3_GFX90A:ACCUM_OFFSET: 1
; COMPUTE_PGM_RSRC3_GFX90A:TG_SPLIT: 0
	.section	.text._Z20shuffle_index_kernelILj64EhEvPT0_Pi,"axG",@progbits,_Z20shuffle_index_kernelILj64EhEvPT0_Pi,comdat
	.protected	_Z20shuffle_index_kernelILj64EhEvPT0_Pi ; -- Begin function _Z20shuffle_index_kernelILj64EhEvPT0_Pi
	.globl	_Z20shuffle_index_kernelILj64EhEvPT0_Pi
	.p2align	8
	.type	_Z20shuffle_index_kernelILj64EhEvPT0_Pi,@function
_Z20shuffle_index_kernelILj64EhEvPT0_Pi: ; @_Z20shuffle_index_kernelILj64EhEvPT0_Pi
; %bb.0:
	s_load_dword s7, s[4:5], 0x1c
	s_load_dwordx4 s[0:3], s[4:5], 0x0
	v_lshrrev_b32_e32 v1, 4, v0
	v_and_b32_e32 v1, 60, v1
	v_mbcnt_lo_u32_b32 v3, -1, 0
	s_waitcnt lgkmcnt(0)
	s_and_b32 s4, s7, 0xffff
	global_load_dword v1, v1, s[2:3]
	s_mul_i32 s6, s6, s4
	v_add_u32_e32 v0, s6, v0
	global_load_ubyte v2, v0, s[0:1]
	v_mbcnt_hi_u32_b32 v3, -1, v3
	s_waitcnt vmcnt(1)
	v_and_b32_e32 v1, 63, v1
	v_and_or_b32 v1, v3, 64, v1
	v_lshlrev_b32_e32 v1, 2, v1
	s_waitcnt vmcnt(0)
	ds_bpermute_b32 v1, v1, v2
	s_waitcnt lgkmcnt(0)
	global_store_byte v0, v1, s[0:1]
	s_endpgm
	.section	.rodata,"a",@progbits
	.p2align	6, 0x0
	.amdhsa_kernel _Z20shuffle_index_kernelILj64EhEvPT0_Pi
		.amdhsa_group_segment_fixed_size 0
		.amdhsa_private_segment_fixed_size 0
		.amdhsa_kernarg_size 272
		.amdhsa_user_sgpr_count 6
		.amdhsa_user_sgpr_private_segment_buffer 1
		.amdhsa_user_sgpr_dispatch_ptr 0
		.amdhsa_user_sgpr_queue_ptr 0
		.amdhsa_user_sgpr_kernarg_segment_ptr 1
		.amdhsa_user_sgpr_dispatch_id 0
		.amdhsa_user_sgpr_flat_scratch_init 0
		.amdhsa_user_sgpr_kernarg_preload_length 0
		.amdhsa_user_sgpr_kernarg_preload_offset 0
		.amdhsa_user_sgpr_private_segment_size 0
		.amdhsa_uses_dynamic_stack 0
		.amdhsa_system_sgpr_private_segment_wavefront_offset 0
		.amdhsa_system_sgpr_workgroup_id_x 1
		.amdhsa_system_sgpr_workgroup_id_y 0
		.amdhsa_system_sgpr_workgroup_id_z 0
		.amdhsa_system_sgpr_workgroup_info 0
		.amdhsa_system_vgpr_workitem_id 0
		.amdhsa_next_free_vgpr 4
		.amdhsa_next_free_sgpr 8
		.amdhsa_accum_offset 4
		.amdhsa_reserve_vcc 0
		.amdhsa_reserve_flat_scratch 0
		.amdhsa_float_round_mode_32 0
		.amdhsa_float_round_mode_16_64 0
		.amdhsa_float_denorm_mode_32 3
		.amdhsa_float_denorm_mode_16_64 3
		.amdhsa_dx10_clamp 1
		.amdhsa_ieee_mode 1
		.amdhsa_fp16_overflow 0
		.amdhsa_tg_split 0
		.amdhsa_exception_fp_ieee_invalid_op 0
		.amdhsa_exception_fp_denorm_src 0
		.amdhsa_exception_fp_ieee_div_zero 0
		.amdhsa_exception_fp_ieee_overflow 0
		.amdhsa_exception_fp_ieee_underflow 0
		.amdhsa_exception_fp_ieee_inexact 0
		.amdhsa_exception_int_div_zero 0
	.end_amdhsa_kernel
	.section	.text._Z20shuffle_index_kernelILj64EhEvPT0_Pi,"axG",@progbits,_Z20shuffle_index_kernelILj64EhEvPT0_Pi,comdat
.Lfunc_end33:
	.size	_Z20shuffle_index_kernelILj64EhEvPT0_Pi, .Lfunc_end33-_Z20shuffle_index_kernelILj64EhEvPT0_Pi
                                        ; -- End function
	.section	.AMDGPU.csdata,"",@progbits
; Kernel info:
; codeLenInByte = 124
; NumSgprs: 12
; NumVgprs: 4
; NumAgprs: 0
; TotalNumVgprs: 4
; ScratchSize: 0
; MemoryBound: 0
; FloatMode: 240
; IeeeMode: 1
; LDSByteSize: 0 bytes/workgroup (compile time only)
; SGPRBlocks: 1
; VGPRBlocks: 0
; NumSGPRsForWavesPerEU: 12
; NumVGPRsForWavesPerEU: 4
; AccumOffset: 4
; Occupancy: 8
; WaveLimiterHint : 0
; COMPUTE_PGM_RSRC2:SCRATCH_EN: 0
; COMPUTE_PGM_RSRC2:USER_SGPR: 6
; COMPUTE_PGM_RSRC2:TRAP_HANDLER: 0
; COMPUTE_PGM_RSRC2:TGID_X_EN: 1
; COMPUTE_PGM_RSRC2:TGID_Y_EN: 0
; COMPUTE_PGM_RSRC2:TGID_Z_EN: 0
; COMPUTE_PGM_RSRC2:TIDIG_COMP_CNT: 0
; COMPUTE_PGM_RSRC3_GFX90A:ACCUM_OFFSET: 0
; COMPUTE_PGM_RSRC3_GFX90A:TG_SPLIT: 0
	.section	.text._Z20shuffle_index_kernelILj64EdEvPT0_Pi,"axG",@progbits,_Z20shuffle_index_kernelILj64EdEvPT0_Pi,comdat
	.protected	_Z20shuffle_index_kernelILj64EdEvPT0_Pi ; -- Begin function _Z20shuffle_index_kernelILj64EdEvPT0_Pi
	.globl	_Z20shuffle_index_kernelILj64EdEvPT0_Pi
	.p2align	8
	.type	_Z20shuffle_index_kernelILj64EdEvPT0_Pi,@function
_Z20shuffle_index_kernelILj64EdEvPT0_Pi: ; @_Z20shuffle_index_kernelILj64EdEvPT0_Pi
; %bb.0:
	s_load_dword s7, s[4:5], 0x1c
	s_load_dwordx4 s[0:3], s[4:5], 0x0
	v_mov_b32_e32 v3, 0
	v_mbcnt_lo_u32_b32 v5, -1, 0
	v_mbcnt_hi_u32_b32 v5, -1, v5
	s_waitcnt lgkmcnt(0)
	s_and_b32 s4, s7, 0xffff
	s_mul_i32 s6, s6, s4
	v_add_u32_e32 v2, s6, v0
	v_lshrrev_b32_e32 v0, 4, v0
	v_and_b32_e32 v0, 60, v0
	v_lshlrev_b64 v[2:3], 3, v[2:3]
	global_load_dword v4, v0, s[2:3]
	v_mov_b32_e32 v1, s1
	v_add_co_u32_e32 v0, vcc, s0, v2
	v_addc_co_u32_e32 v1, vcc, v1, v3, vcc
	global_load_dwordx2 v[2:3], v[0:1], off
	s_waitcnt vmcnt(1)
	v_and_b32_e32 v4, 63, v4
	v_and_or_b32 v4, v5, 64, v4
	v_lshlrev_b32_e32 v4, 2, v4
	s_waitcnt vmcnt(0)
	ds_bpermute_b32 v2, v4, v2
	ds_bpermute_b32 v3, v4, v3
	s_waitcnt lgkmcnt(0)
	global_store_dwordx2 v[0:1], v[2:3], off
	s_endpgm
	.section	.rodata,"a",@progbits
	.p2align	6, 0x0
	.amdhsa_kernel _Z20shuffle_index_kernelILj64EdEvPT0_Pi
		.amdhsa_group_segment_fixed_size 0
		.amdhsa_private_segment_fixed_size 0
		.amdhsa_kernarg_size 272
		.amdhsa_user_sgpr_count 6
		.amdhsa_user_sgpr_private_segment_buffer 1
		.amdhsa_user_sgpr_dispatch_ptr 0
		.amdhsa_user_sgpr_queue_ptr 0
		.amdhsa_user_sgpr_kernarg_segment_ptr 1
		.amdhsa_user_sgpr_dispatch_id 0
		.amdhsa_user_sgpr_flat_scratch_init 0
		.amdhsa_user_sgpr_kernarg_preload_length 0
		.amdhsa_user_sgpr_kernarg_preload_offset 0
		.amdhsa_user_sgpr_private_segment_size 0
		.amdhsa_uses_dynamic_stack 0
		.amdhsa_system_sgpr_private_segment_wavefront_offset 0
		.amdhsa_system_sgpr_workgroup_id_x 1
		.amdhsa_system_sgpr_workgroup_id_y 0
		.amdhsa_system_sgpr_workgroup_id_z 0
		.amdhsa_system_sgpr_workgroup_info 0
		.amdhsa_system_vgpr_workitem_id 0
		.amdhsa_next_free_vgpr 6
		.amdhsa_next_free_sgpr 8
		.amdhsa_accum_offset 8
		.amdhsa_reserve_vcc 1
		.amdhsa_reserve_flat_scratch 0
		.amdhsa_float_round_mode_32 0
		.amdhsa_float_round_mode_16_64 0
		.amdhsa_float_denorm_mode_32 3
		.amdhsa_float_denorm_mode_16_64 3
		.amdhsa_dx10_clamp 1
		.amdhsa_ieee_mode 1
		.amdhsa_fp16_overflow 0
		.amdhsa_tg_split 0
		.amdhsa_exception_fp_ieee_invalid_op 0
		.amdhsa_exception_fp_denorm_src 0
		.amdhsa_exception_fp_ieee_div_zero 0
		.amdhsa_exception_fp_ieee_overflow 0
		.amdhsa_exception_fp_ieee_underflow 0
		.amdhsa_exception_fp_ieee_inexact 0
		.amdhsa_exception_int_div_zero 0
	.end_amdhsa_kernel
	.section	.text._Z20shuffle_index_kernelILj64EdEvPT0_Pi,"axG",@progbits,_Z20shuffle_index_kernelILj64EdEvPT0_Pi,comdat
.Lfunc_end34:
	.size	_Z20shuffle_index_kernelILj64EdEvPT0_Pi, .Lfunc_end34-_Z20shuffle_index_kernelILj64EdEvPT0_Pi
                                        ; -- End function
	.section	.AMDGPU.csdata,"",@progbits
; Kernel info:
; codeLenInByte = 156
; NumSgprs: 12
; NumVgprs: 6
; NumAgprs: 0
; TotalNumVgprs: 6
; ScratchSize: 0
; MemoryBound: 0
; FloatMode: 240
; IeeeMode: 1
; LDSByteSize: 0 bytes/workgroup (compile time only)
; SGPRBlocks: 1
; VGPRBlocks: 0
; NumSGPRsForWavesPerEU: 12
; NumVGPRsForWavesPerEU: 6
; AccumOffset: 8
; Occupancy: 8
; WaveLimiterHint : 0
; COMPUTE_PGM_RSRC2:SCRATCH_EN: 0
; COMPUTE_PGM_RSRC2:USER_SGPR: 6
; COMPUTE_PGM_RSRC2:TRAP_HANDLER: 0
; COMPUTE_PGM_RSRC2:TGID_X_EN: 1
; COMPUTE_PGM_RSRC2:TGID_Y_EN: 0
; COMPUTE_PGM_RSRC2:TGID_Z_EN: 0
; COMPUTE_PGM_RSRC2:TIDIG_COMP_CNT: 0
; COMPUTE_PGM_RSRC3_GFX90A:ACCUM_OFFSET: 1
; COMPUTE_PGM_RSRC3_GFX90A:TG_SPLIT: 0
	.section	.text._Z20shuffle_index_kernelILj64EfEvPT0_Pi,"axG",@progbits,_Z20shuffle_index_kernelILj64EfEvPT0_Pi,comdat
	.protected	_Z20shuffle_index_kernelILj64EfEvPT0_Pi ; -- Begin function _Z20shuffle_index_kernelILj64EfEvPT0_Pi
	.globl	_Z20shuffle_index_kernelILj64EfEvPT0_Pi
	.p2align	8
	.type	_Z20shuffle_index_kernelILj64EfEvPT0_Pi,@function
_Z20shuffle_index_kernelILj64EfEvPT0_Pi: ; @_Z20shuffle_index_kernelILj64EfEvPT0_Pi
; %bb.0:
	s_load_dword s7, s[4:5], 0x1c
	s_load_dwordx4 s[0:3], s[4:5], 0x0
	v_mov_b32_e32 v3, 0
	s_waitcnt lgkmcnt(0)
	s_and_b32 s4, s7, 0xffff
	s_mul_i32 s6, s6, s4
	v_add_u32_e32 v2, s6, v0
	v_lshrrev_b32_e32 v0, 4, v0
	v_and_b32_e32 v0, 60, v0
	v_lshlrev_b64 v[2:3], 2, v[2:3]
	global_load_dword v4, v0, s[2:3]
	v_mov_b32_e32 v1, s1
	v_add_co_u32_e32 v0, vcc, s0, v2
	v_addc_co_u32_e32 v1, vcc, v1, v3, vcc
	global_load_dword v2, v[0:1], off
	v_mbcnt_lo_u32_b32 v3, -1, 0
	v_mbcnt_hi_u32_b32 v3, -1, v3
	s_waitcnt vmcnt(1)
	v_and_b32_e32 v4, 63, v4
	v_and_or_b32 v3, v3, 64, v4
	v_lshlrev_b32_e32 v3, 2, v3
	s_waitcnt vmcnt(0)
	ds_bpermute_b32 v2, v3, v2
	s_waitcnt lgkmcnt(0)
	global_store_dword v[0:1], v2, off
	s_endpgm
	.section	.rodata,"a",@progbits
	.p2align	6, 0x0
	.amdhsa_kernel _Z20shuffle_index_kernelILj64EfEvPT0_Pi
		.amdhsa_group_segment_fixed_size 0
		.amdhsa_private_segment_fixed_size 0
		.amdhsa_kernarg_size 272
		.amdhsa_user_sgpr_count 6
		.amdhsa_user_sgpr_private_segment_buffer 1
		.amdhsa_user_sgpr_dispatch_ptr 0
		.amdhsa_user_sgpr_queue_ptr 0
		.amdhsa_user_sgpr_kernarg_segment_ptr 1
		.amdhsa_user_sgpr_dispatch_id 0
		.amdhsa_user_sgpr_flat_scratch_init 0
		.amdhsa_user_sgpr_kernarg_preload_length 0
		.amdhsa_user_sgpr_kernarg_preload_offset 0
		.amdhsa_user_sgpr_private_segment_size 0
		.amdhsa_uses_dynamic_stack 0
		.amdhsa_system_sgpr_private_segment_wavefront_offset 0
		.amdhsa_system_sgpr_workgroup_id_x 1
		.amdhsa_system_sgpr_workgroup_id_y 0
		.amdhsa_system_sgpr_workgroup_id_z 0
		.amdhsa_system_sgpr_workgroup_info 0
		.amdhsa_system_vgpr_workitem_id 0
		.amdhsa_next_free_vgpr 5
		.amdhsa_next_free_sgpr 8
		.amdhsa_accum_offset 8
		.amdhsa_reserve_vcc 1
		.amdhsa_reserve_flat_scratch 0
		.amdhsa_float_round_mode_32 0
		.amdhsa_float_round_mode_16_64 0
		.amdhsa_float_denorm_mode_32 3
		.amdhsa_float_denorm_mode_16_64 3
		.amdhsa_dx10_clamp 1
		.amdhsa_ieee_mode 1
		.amdhsa_fp16_overflow 0
		.amdhsa_tg_split 0
		.amdhsa_exception_fp_ieee_invalid_op 0
		.amdhsa_exception_fp_denorm_src 0
		.amdhsa_exception_fp_ieee_div_zero 0
		.amdhsa_exception_fp_ieee_overflow 0
		.amdhsa_exception_fp_ieee_underflow 0
		.amdhsa_exception_fp_ieee_inexact 0
		.amdhsa_exception_int_div_zero 0
	.end_amdhsa_kernel
	.section	.text._Z20shuffle_index_kernelILj64EfEvPT0_Pi,"axG",@progbits,_Z20shuffle_index_kernelILj64EfEvPT0_Pi,comdat
.Lfunc_end35:
	.size	_Z20shuffle_index_kernelILj64EfEvPT0_Pi, .Lfunc_end35-_Z20shuffle_index_kernelILj64EfEvPT0_Pi
                                        ; -- End function
	.section	.AMDGPU.csdata,"",@progbits
; Kernel info:
; codeLenInByte = 148
; NumSgprs: 12
; NumVgprs: 5
; NumAgprs: 0
; TotalNumVgprs: 5
; ScratchSize: 0
; MemoryBound: 0
; FloatMode: 240
; IeeeMode: 1
; LDSByteSize: 0 bytes/workgroup (compile time only)
; SGPRBlocks: 1
; VGPRBlocks: 0
; NumSGPRsForWavesPerEU: 12
; NumVGPRsForWavesPerEU: 5
; AccumOffset: 8
; Occupancy: 8
; WaveLimiterHint : 0
; COMPUTE_PGM_RSRC2:SCRATCH_EN: 0
; COMPUTE_PGM_RSRC2:USER_SGPR: 6
; COMPUTE_PGM_RSRC2:TRAP_HANDLER: 0
; COMPUTE_PGM_RSRC2:TGID_X_EN: 1
; COMPUTE_PGM_RSRC2:TGID_Y_EN: 0
; COMPUTE_PGM_RSRC2:TGID_Z_EN: 0
; COMPUTE_PGM_RSRC2:TIDIG_COMP_CNT: 0
; COMPUTE_PGM_RSRC3_GFX90A:ACCUM_OFFSET: 1
; COMPUTE_PGM_RSRC3_GFX90A:TG_SPLIT: 0
	.section	.text._Z20shuffle_index_kernelILj32EhEvPT0_Pi,"axG",@progbits,_Z20shuffle_index_kernelILj32EhEvPT0_Pi,comdat
	.protected	_Z20shuffle_index_kernelILj32EhEvPT0_Pi ; -- Begin function _Z20shuffle_index_kernelILj32EhEvPT0_Pi
	.globl	_Z20shuffle_index_kernelILj32EhEvPT0_Pi
	.p2align	8
	.type	_Z20shuffle_index_kernelILj32EhEvPT0_Pi,@function
_Z20shuffle_index_kernelILj32EhEvPT0_Pi: ; @_Z20shuffle_index_kernelILj32EhEvPT0_Pi
; %bb.0:
	s_load_dwordx4 s[0:3], s[4:5], 0x0
	s_load_dword s7, s[4:5], 0x1c
	v_lshrrev_b32_e32 v1, 3, v0
	v_and_b32_e32 v1, 0x7c, v1
	v_mbcnt_lo_u32_b32 v3, -1, 0
	s_waitcnt lgkmcnt(0)
	global_load_dword v1, v1, s[2:3]
	s_and_b32 s2, s7, 0xffff
	s_mul_i32 s6, s6, s2
	v_add_u32_e32 v0, s6, v0
	global_load_ubyte v2, v0, s[0:1]
	v_mbcnt_hi_u32_b32 v3, -1, v3
	s_movk_i32 s2, 0x60
	s_waitcnt vmcnt(1)
	v_and_b32_e32 v1, 31, v1
	v_and_or_b32 v1, v3, s2, v1
	v_lshlrev_b32_e32 v1, 2, v1
	s_waitcnt vmcnt(0)
	ds_bpermute_b32 v1, v1, v2
	s_waitcnt lgkmcnt(0)
	global_store_byte v0, v1, s[0:1]
	s_endpgm
	.section	.rodata,"a",@progbits
	.p2align	6, 0x0
	.amdhsa_kernel _Z20shuffle_index_kernelILj32EhEvPT0_Pi
		.amdhsa_group_segment_fixed_size 0
		.amdhsa_private_segment_fixed_size 0
		.amdhsa_kernarg_size 272
		.amdhsa_user_sgpr_count 6
		.amdhsa_user_sgpr_private_segment_buffer 1
		.amdhsa_user_sgpr_dispatch_ptr 0
		.amdhsa_user_sgpr_queue_ptr 0
		.amdhsa_user_sgpr_kernarg_segment_ptr 1
		.amdhsa_user_sgpr_dispatch_id 0
		.amdhsa_user_sgpr_flat_scratch_init 0
		.amdhsa_user_sgpr_kernarg_preload_length 0
		.amdhsa_user_sgpr_kernarg_preload_offset 0
		.amdhsa_user_sgpr_private_segment_size 0
		.amdhsa_uses_dynamic_stack 0
		.amdhsa_system_sgpr_private_segment_wavefront_offset 0
		.amdhsa_system_sgpr_workgroup_id_x 1
		.amdhsa_system_sgpr_workgroup_id_y 0
		.amdhsa_system_sgpr_workgroup_id_z 0
		.amdhsa_system_sgpr_workgroup_info 0
		.amdhsa_system_vgpr_workitem_id 0
		.amdhsa_next_free_vgpr 4
		.amdhsa_next_free_sgpr 8
		.amdhsa_accum_offset 4
		.amdhsa_reserve_vcc 0
		.amdhsa_reserve_flat_scratch 0
		.amdhsa_float_round_mode_32 0
		.amdhsa_float_round_mode_16_64 0
		.amdhsa_float_denorm_mode_32 3
		.amdhsa_float_denorm_mode_16_64 3
		.amdhsa_dx10_clamp 1
		.amdhsa_ieee_mode 1
		.amdhsa_fp16_overflow 0
		.amdhsa_tg_split 0
		.amdhsa_exception_fp_ieee_invalid_op 0
		.amdhsa_exception_fp_denorm_src 0
		.amdhsa_exception_fp_ieee_div_zero 0
		.amdhsa_exception_fp_ieee_overflow 0
		.amdhsa_exception_fp_ieee_underflow 0
		.amdhsa_exception_fp_ieee_inexact 0
		.amdhsa_exception_int_div_zero 0
	.end_amdhsa_kernel
	.section	.text._Z20shuffle_index_kernelILj32EhEvPT0_Pi,"axG",@progbits,_Z20shuffle_index_kernelILj32EhEvPT0_Pi,comdat
.Lfunc_end36:
	.size	_Z20shuffle_index_kernelILj32EhEvPT0_Pi, .Lfunc_end36-_Z20shuffle_index_kernelILj32EhEvPT0_Pi
                                        ; -- End function
	.section	.AMDGPU.csdata,"",@progbits
; Kernel info:
; codeLenInByte = 132
; NumSgprs: 12
; NumVgprs: 4
; NumAgprs: 0
; TotalNumVgprs: 4
; ScratchSize: 0
; MemoryBound: 0
; FloatMode: 240
; IeeeMode: 1
; LDSByteSize: 0 bytes/workgroup (compile time only)
; SGPRBlocks: 1
; VGPRBlocks: 0
; NumSGPRsForWavesPerEU: 12
; NumVGPRsForWavesPerEU: 4
; AccumOffset: 4
; Occupancy: 8
; WaveLimiterHint : 0
; COMPUTE_PGM_RSRC2:SCRATCH_EN: 0
; COMPUTE_PGM_RSRC2:USER_SGPR: 6
; COMPUTE_PGM_RSRC2:TRAP_HANDLER: 0
; COMPUTE_PGM_RSRC2:TGID_X_EN: 1
; COMPUTE_PGM_RSRC2:TGID_Y_EN: 0
; COMPUTE_PGM_RSRC2:TGID_Z_EN: 0
; COMPUTE_PGM_RSRC2:TIDIG_COMP_CNT: 0
; COMPUTE_PGM_RSRC3_GFX90A:ACCUM_OFFSET: 0
; COMPUTE_PGM_RSRC3_GFX90A:TG_SPLIT: 0
	.section	.text._Z20shuffle_index_kernelILj32E12hip_bfloat16EvPT0_Pi,"axG",@progbits,_Z20shuffle_index_kernelILj32E12hip_bfloat16EvPT0_Pi,comdat
	.protected	_Z20shuffle_index_kernelILj32E12hip_bfloat16EvPT0_Pi ; -- Begin function _Z20shuffle_index_kernelILj32E12hip_bfloat16EvPT0_Pi
	.globl	_Z20shuffle_index_kernelILj32E12hip_bfloat16EvPT0_Pi
	.p2align	8
	.type	_Z20shuffle_index_kernelILj32E12hip_bfloat16EvPT0_Pi,@function
_Z20shuffle_index_kernelILj32E12hip_bfloat16EvPT0_Pi: ; @_Z20shuffle_index_kernelILj32E12hip_bfloat16EvPT0_Pi
; %bb.0:
	s_load_dword s7, s[4:5], 0x1c
	s_load_dwordx4 s[0:3], s[4:5], 0x0
	v_mov_b32_e32 v3, 0
	s_waitcnt lgkmcnt(0)
	s_and_b32 s4, s7, 0xffff
	s_mul_i32 s6, s6, s4
	v_add_u32_e32 v2, s6, v0
	v_lshrrev_b32_e32 v0, 3, v0
	v_and_b32_e32 v0, 0x7c, v0
	v_lshlrev_b64 v[2:3], 1, v[2:3]
	global_load_dword v4, v0, s[2:3]
	v_mov_b32_e32 v1, s1
	v_add_co_u32_e32 v0, vcc, s0, v2
	v_addc_co_u32_e32 v1, vcc, v1, v3, vcc
	global_load_ushort v2, v[0:1], off
	v_mbcnt_lo_u32_b32 v3, -1, 0
	v_mbcnt_hi_u32_b32 v3, -1, v3
	s_movk_i32 s0, 0x60
	s_waitcnt vmcnt(1)
	v_and_b32_e32 v4, 31, v4
	v_and_or_b32 v3, v3, s0, v4
	v_lshlrev_b32_e32 v3, 2, v3
	s_waitcnt vmcnt(0)
	ds_bpermute_b32 v2, v3, v2
	s_waitcnt lgkmcnt(0)
	global_store_short v[0:1], v2, off
	s_endpgm
	.section	.rodata,"a",@progbits
	.p2align	6, 0x0
	.amdhsa_kernel _Z20shuffle_index_kernelILj32E12hip_bfloat16EvPT0_Pi
		.amdhsa_group_segment_fixed_size 0
		.amdhsa_private_segment_fixed_size 0
		.amdhsa_kernarg_size 272
		.amdhsa_user_sgpr_count 6
		.amdhsa_user_sgpr_private_segment_buffer 1
		.amdhsa_user_sgpr_dispatch_ptr 0
		.amdhsa_user_sgpr_queue_ptr 0
		.amdhsa_user_sgpr_kernarg_segment_ptr 1
		.amdhsa_user_sgpr_dispatch_id 0
		.amdhsa_user_sgpr_flat_scratch_init 0
		.amdhsa_user_sgpr_kernarg_preload_length 0
		.amdhsa_user_sgpr_kernarg_preload_offset 0
		.amdhsa_user_sgpr_private_segment_size 0
		.amdhsa_uses_dynamic_stack 0
		.amdhsa_system_sgpr_private_segment_wavefront_offset 0
		.amdhsa_system_sgpr_workgroup_id_x 1
		.amdhsa_system_sgpr_workgroup_id_y 0
		.amdhsa_system_sgpr_workgroup_id_z 0
		.amdhsa_system_sgpr_workgroup_info 0
		.amdhsa_system_vgpr_workitem_id 0
		.amdhsa_next_free_vgpr 5
		.amdhsa_next_free_sgpr 8
		.amdhsa_accum_offset 8
		.amdhsa_reserve_vcc 1
		.amdhsa_reserve_flat_scratch 0
		.amdhsa_float_round_mode_32 0
		.amdhsa_float_round_mode_16_64 0
		.amdhsa_float_denorm_mode_32 3
		.amdhsa_float_denorm_mode_16_64 3
		.amdhsa_dx10_clamp 1
		.amdhsa_ieee_mode 1
		.amdhsa_fp16_overflow 0
		.amdhsa_tg_split 0
		.amdhsa_exception_fp_ieee_invalid_op 0
		.amdhsa_exception_fp_denorm_src 0
		.amdhsa_exception_fp_ieee_div_zero 0
		.amdhsa_exception_fp_ieee_overflow 0
		.amdhsa_exception_fp_ieee_underflow 0
		.amdhsa_exception_fp_ieee_inexact 0
		.amdhsa_exception_int_div_zero 0
	.end_amdhsa_kernel
	.section	.text._Z20shuffle_index_kernelILj32E12hip_bfloat16EvPT0_Pi,"axG",@progbits,_Z20shuffle_index_kernelILj32E12hip_bfloat16EvPT0_Pi,comdat
.Lfunc_end37:
	.size	_Z20shuffle_index_kernelILj32E12hip_bfloat16EvPT0_Pi, .Lfunc_end37-_Z20shuffle_index_kernelILj32E12hip_bfloat16EvPT0_Pi
                                        ; -- End function
	.section	.AMDGPU.csdata,"",@progbits
; Kernel info:
; codeLenInByte = 156
; NumSgprs: 12
; NumVgprs: 5
; NumAgprs: 0
; TotalNumVgprs: 5
; ScratchSize: 0
; MemoryBound: 0
; FloatMode: 240
; IeeeMode: 1
; LDSByteSize: 0 bytes/workgroup (compile time only)
; SGPRBlocks: 1
; VGPRBlocks: 0
; NumSGPRsForWavesPerEU: 12
; NumVGPRsForWavesPerEU: 5
; AccumOffset: 8
; Occupancy: 8
; WaveLimiterHint : 0
; COMPUTE_PGM_RSRC2:SCRATCH_EN: 0
; COMPUTE_PGM_RSRC2:USER_SGPR: 6
; COMPUTE_PGM_RSRC2:TRAP_HANDLER: 0
; COMPUTE_PGM_RSRC2:TGID_X_EN: 1
; COMPUTE_PGM_RSRC2:TGID_Y_EN: 0
; COMPUTE_PGM_RSRC2:TGID_Z_EN: 0
; COMPUTE_PGM_RSRC2:TIDIG_COMP_CNT: 0
; COMPUTE_PGM_RSRC3_GFX90A:ACCUM_OFFSET: 1
; COMPUTE_PGM_RSRC3_GFX90A:TG_SPLIT: 0
	.section	.text._Z20shuffle_index_kernelILj32E6__halfEvPT0_Pi,"axG",@progbits,_Z20shuffle_index_kernelILj32E6__halfEvPT0_Pi,comdat
	.protected	_Z20shuffle_index_kernelILj32E6__halfEvPT0_Pi ; -- Begin function _Z20shuffle_index_kernelILj32E6__halfEvPT0_Pi
	.globl	_Z20shuffle_index_kernelILj32E6__halfEvPT0_Pi
	.p2align	8
	.type	_Z20shuffle_index_kernelILj32E6__halfEvPT0_Pi,@function
_Z20shuffle_index_kernelILj32E6__halfEvPT0_Pi: ; @_Z20shuffle_index_kernelILj32E6__halfEvPT0_Pi
; %bb.0:
	s_load_dword s7, s[4:5], 0x1c
	s_load_dwordx4 s[0:3], s[4:5], 0x0
	v_mov_b32_e32 v3, 0
	s_waitcnt lgkmcnt(0)
	s_and_b32 s4, s7, 0xffff
	s_mul_i32 s6, s6, s4
	v_add_u32_e32 v2, s6, v0
	v_lshrrev_b32_e32 v0, 3, v0
	v_and_b32_e32 v0, 0x7c, v0
	v_lshlrev_b64 v[2:3], 1, v[2:3]
	global_load_dword v4, v0, s[2:3]
	v_mov_b32_e32 v1, s1
	v_add_co_u32_e32 v0, vcc, s0, v2
	v_addc_co_u32_e32 v1, vcc, v1, v3, vcc
	global_load_ushort v2, v[0:1], off
	v_mbcnt_lo_u32_b32 v3, -1, 0
	v_mbcnt_hi_u32_b32 v3, -1, v3
	s_movk_i32 s0, 0x60
	s_waitcnt vmcnt(1)
	v_and_b32_e32 v4, 31, v4
	v_and_or_b32 v3, v3, s0, v4
	v_lshlrev_b32_e32 v3, 2, v3
	s_waitcnt vmcnt(0)
	ds_bpermute_b32 v2, v3, v2
	s_waitcnt lgkmcnt(0)
	global_store_short v[0:1], v2, off
	s_endpgm
	.section	.rodata,"a",@progbits
	.p2align	6, 0x0
	.amdhsa_kernel _Z20shuffle_index_kernelILj32E6__halfEvPT0_Pi
		.amdhsa_group_segment_fixed_size 0
		.amdhsa_private_segment_fixed_size 0
		.amdhsa_kernarg_size 272
		.amdhsa_user_sgpr_count 6
		.amdhsa_user_sgpr_private_segment_buffer 1
		.amdhsa_user_sgpr_dispatch_ptr 0
		.amdhsa_user_sgpr_queue_ptr 0
		.amdhsa_user_sgpr_kernarg_segment_ptr 1
		.amdhsa_user_sgpr_dispatch_id 0
		.amdhsa_user_sgpr_flat_scratch_init 0
		.amdhsa_user_sgpr_kernarg_preload_length 0
		.amdhsa_user_sgpr_kernarg_preload_offset 0
		.amdhsa_user_sgpr_private_segment_size 0
		.amdhsa_uses_dynamic_stack 0
		.amdhsa_system_sgpr_private_segment_wavefront_offset 0
		.amdhsa_system_sgpr_workgroup_id_x 1
		.amdhsa_system_sgpr_workgroup_id_y 0
		.amdhsa_system_sgpr_workgroup_id_z 0
		.amdhsa_system_sgpr_workgroup_info 0
		.amdhsa_system_vgpr_workitem_id 0
		.amdhsa_next_free_vgpr 5
		.amdhsa_next_free_sgpr 8
		.amdhsa_accum_offset 8
		.amdhsa_reserve_vcc 1
		.amdhsa_reserve_flat_scratch 0
		.amdhsa_float_round_mode_32 0
		.amdhsa_float_round_mode_16_64 0
		.amdhsa_float_denorm_mode_32 3
		.amdhsa_float_denorm_mode_16_64 3
		.amdhsa_dx10_clamp 1
		.amdhsa_ieee_mode 1
		.amdhsa_fp16_overflow 0
		.amdhsa_tg_split 0
		.amdhsa_exception_fp_ieee_invalid_op 0
		.amdhsa_exception_fp_denorm_src 0
		.amdhsa_exception_fp_ieee_div_zero 0
		.amdhsa_exception_fp_ieee_overflow 0
		.amdhsa_exception_fp_ieee_underflow 0
		.amdhsa_exception_fp_ieee_inexact 0
		.amdhsa_exception_int_div_zero 0
	.end_amdhsa_kernel
	.section	.text._Z20shuffle_index_kernelILj32E6__halfEvPT0_Pi,"axG",@progbits,_Z20shuffle_index_kernelILj32E6__halfEvPT0_Pi,comdat
.Lfunc_end38:
	.size	_Z20shuffle_index_kernelILj32E6__halfEvPT0_Pi, .Lfunc_end38-_Z20shuffle_index_kernelILj32E6__halfEvPT0_Pi
                                        ; -- End function
	.section	.AMDGPU.csdata,"",@progbits
; Kernel info:
; codeLenInByte = 156
; NumSgprs: 12
; NumVgprs: 5
; NumAgprs: 0
; TotalNumVgprs: 5
; ScratchSize: 0
; MemoryBound: 0
; FloatMode: 240
; IeeeMode: 1
; LDSByteSize: 0 bytes/workgroup (compile time only)
; SGPRBlocks: 1
; VGPRBlocks: 0
; NumSGPRsForWavesPerEU: 12
; NumVGPRsForWavesPerEU: 5
; AccumOffset: 8
; Occupancy: 8
; WaveLimiterHint : 0
; COMPUTE_PGM_RSRC2:SCRATCH_EN: 0
; COMPUTE_PGM_RSRC2:USER_SGPR: 6
; COMPUTE_PGM_RSRC2:TRAP_HANDLER: 0
; COMPUTE_PGM_RSRC2:TGID_X_EN: 1
; COMPUTE_PGM_RSRC2:TGID_Y_EN: 0
; COMPUTE_PGM_RSRC2:TGID_Z_EN: 0
; COMPUTE_PGM_RSRC2:TIDIG_COMP_CNT: 0
; COMPUTE_PGM_RSRC3_GFX90A:ACCUM_OFFSET: 1
; COMPUTE_PGM_RSRC3_GFX90A:TG_SPLIT: 0
	.section	.text._Z20shuffle_index_kernelILj32EdEvPT0_Pi,"axG",@progbits,_Z20shuffle_index_kernelILj32EdEvPT0_Pi,comdat
	.protected	_Z20shuffle_index_kernelILj32EdEvPT0_Pi ; -- Begin function _Z20shuffle_index_kernelILj32EdEvPT0_Pi
	.globl	_Z20shuffle_index_kernelILj32EdEvPT0_Pi
	.p2align	8
	.type	_Z20shuffle_index_kernelILj32EdEvPT0_Pi,@function
_Z20shuffle_index_kernelILj32EdEvPT0_Pi: ; @_Z20shuffle_index_kernelILj32EdEvPT0_Pi
; %bb.0:
	s_load_dword s7, s[4:5], 0x1c
	s_load_dwordx4 s[0:3], s[4:5], 0x0
	v_mov_b32_e32 v3, 0
	v_mbcnt_lo_u32_b32 v5, -1, 0
	v_mbcnt_hi_u32_b32 v5, -1, v5
	s_waitcnt lgkmcnt(0)
	s_and_b32 s4, s7, 0xffff
	s_mul_i32 s6, s6, s4
	v_add_u32_e32 v2, s6, v0
	v_lshrrev_b32_e32 v0, 3, v0
	v_and_b32_e32 v0, 0x7c, v0
	v_lshlrev_b64 v[2:3], 3, v[2:3]
	global_load_dword v4, v0, s[2:3]
	v_mov_b32_e32 v1, s1
	v_add_co_u32_e32 v0, vcc, s0, v2
	v_addc_co_u32_e32 v1, vcc, v1, v3, vcc
	global_load_dwordx2 v[2:3], v[0:1], off
	s_movk_i32 s0, 0x60
	s_waitcnt vmcnt(1)
	v_and_b32_e32 v4, 31, v4
	v_and_or_b32 v4, v5, s0, v4
	v_lshlrev_b32_e32 v4, 2, v4
	s_waitcnt vmcnt(0)
	ds_bpermute_b32 v2, v4, v2
	ds_bpermute_b32 v3, v4, v3
	s_waitcnt lgkmcnt(0)
	global_store_dwordx2 v[0:1], v[2:3], off
	s_endpgm
	.section	.rodata,"a",@progbits
	.p2align	6, 0x0
	.amdhsa_kernel _Z20shuffle_index_kernelILj32EdEvPT0_Pi
		.amdhsa_group_segment_fixed_size 0
		.amdhsa_private_segment_fixed_size 0
		.amdhsa_kernarg_size 272
		.amdhsa_user_sgpr_count 6
		.amdhsa_user_sgpr_private_segment_buffer 1
		.amdhsa_user_sgpr_dispatch_ptr 0
		.amdhsa_user_sgpr_queue_ptr 0
		.amdhsa_user_sgpr_kernarg_segment_ptr 1
		.amdhsa_user_sgpr_dispatch_id 0
		.amdhsa_user_sgpr_flat_scratch_init 0
		.amdhsa_user_sgpr_kernarg_preload_length 0
		.amdhsa_user_sgpr_kernarg_preload_offset 0
		.amdhsa_user_sgpr_private_segment_size 0
		.amdhsa_uses_dynamic_stack 0
		.amdhsa_system_sgpr_private_segment_wavefront_offset 0
		.amdhsa_system_sgpr_workgroup_id_x 1
		.amdhsa_system_sgpr_workgroup_id_y 0
		.amdhsa_system_sgpr_workgroup_id_z 0
		.amdhsa_system_sgpr_workgroup_info 0
		.amdhsa_system_vgpr_workitem_id 0
		.amdhsa_next_free_vgpr 6
		.amdhsa_next_free_sgpr 8
		.amdhsa_accum_offset 8
		.amdhsa_reserve_vcc 1
		.amdhsa_reserve_flat_scratch 0
		.amdhsa_float_round_mode_32 0
		.amdhsa_float_round_mode_16_64 0
		.amdhsa_float_denorm_mode_32 3
		.amdhsa_float_denorm_mode_16_64 3
		.amdhsa_dx10_clamp 1
		.amdhsa_ieee_mode 1
		.amdhsa_fp16_overflow 0
		.amdhsa_tg_split 0
		.amdhsa_exception_fp_ieee_invalid_op 0
		.amdhsa_exception_fp_denorm_src 0
		.amdhsa_exception_fp_ieee_div_zero 0
		.amdhsa_exception_fp_ieee_overflow 0
		.amdhsa_exception_fp_ieee_underflow 0
		.amdhsa_exception_fp_ieee_inexact 0
		.amdhsa_exception_int_div_zero 0
	.end_amdhsa_kernel
	.section	.text._Z20shuffle_index_kernelILj32EdEvPT0_Pi,"axG",@progbits,_Z20shuffle_index_kernelILj32EdEvPT0_Pi,comdat
.Lfunc_end39:
	.size	_Z20shuffle_index_kernelILj32EdEvPT0_Pi, .Lfunc_end39-_Z20shuffle_index_kernelILj32EdEvPT0_Pi
                                        ; -- End function
	.section	.AMDGPU.csdata,"",@progbits
; Kernel info:
; codeLenInByte = 164
; NumSgprs: 12
; NumVgprs: 6
; NumAgprs: 0
; TotalNumVgprs: 6
; ScratchSize: 0
; MemoryBound: 0
; FloatMode: 240
; IeeeMode: 1
; LDSByteSize: 0 bytes/workgroup (compile time only)
; SGPRBlocks: 1
; VGPRBlocks: 0
; NumSGPRsForWavesPerEU: 12
; NumVGPRsForWavesPerEU: 6
; AccumOffset: 8
; Occupancy: 8
; WaveLimiterHint : 0
; COMPUTE_PGM_RSRC2:SCRATCH_EN: 0
; COMPUTE_PGM_RSRC2:USER_SGPR: 6
; COMPUTE_PGM_RSRC2:TRAP_HANDLER: 0
; COMPUTE_PGM_RSRC2:TGID_X_EN: 1
; COMPUTE_PGM_RSRC2:TGID_Y_EN: 0
; COMPUTE_PGM_RSRC2:TGID_Z_EN: 0
; COMPUTE_PGM_RSRC2:TIDIG_COMP_CNT: 0
; COMPUTE_PGM_RSRC3_GFX90A:ACCUM_OFFSET: 1
; COMPUTE_PGM_RSRC3_GFX90A:TG_SPLIT: 0
	.section	.text._Z20shuffle_index_kernelILj32EfEvPT0_Pi,"axG",@progbits,_Z20shuffle_index_kernelILj32EfEvPT0_Pi,comdat
	.protected	_Z20shuffle_index_kernelILj32EfEvPT0_Pi ; -- Begin function _Z20shuffle_index_kernelILj32EfEvPT0_Pi
	.globl	_Z20shuffle_index_kernelILj32EfEvPT0_Pi
	.p2align	8
	.type	_Z20shuffle_index_kernelILj32EfEvPT0_Pi,@function
_Z20shuffle_index_kernelILj32EfEvPT0_Pi: ; @_Z20shuffle_index_kernelILj32EfEvPT0_Pi
; %bb.0:
	s_load_dword s7, s[4:5], 0x1c
	s_load_dwordx4 s[0:3], s[4:5], 0x0
	v_mov_b32_e32 v3, 0
	s_waitcnt lgkmcnt(0)
	s_and_b32 s4, s7, 0xffff
	s_mul_i32 s6, s6, s4
	v_add_u32_e32 v2, s6, v0
	v_lshrrev_b32_e32 v0, 3, v0
	v_and_b32_e32 v0, 0x7c, v0
	v_lshlrev_b64 v[2:3], 2, v[2:3]
	global_load_dword v4, v0, s[2:3]
	v_mov_b32_e32 v1, s1
	v_add_co_u32_e32 v0, vcc, s0, v2
	v_addc_co_u32_e32 v1, vcc, v1, v3, vcc
	global_load_dword v2, v[0:1], off
	v_mbcnt_lo_u32_b32 v3, -1, 0
	v_mbcnt_hi_u32_b32 v3, -1, v3
	s_movk_i32 s0, 0x60
	s_waitcnt vmcnt(1)
	v_and_b32_e32 v4, 31, v4
	v_and_or_b32 v3, v3, s0, v4
	v_lshlrev_b32_e32 v3, 2, v3
	s_waitcnt vmcnt(0)
	ds_bpermute_b32 v2, v3, v2
	s_waitcnt lgkmcnt(0)
	global_store_dword v[0:1], v2, off
	s_endpgm
	.section	.rodata,"a",@progbits
	.p2align	6, 0x0
	.amdhsa_kernel _Z20shuffle_index_kernelILj32EfEvPT0_Pi
		.amdhsa_group_segment_fixed_size 0
		.amdhsa_private_segment_fixed_size 0
		.amdhsa_kernarg_size 272
		.amdhsa_user_sgpr_count 6
		.amdhsa_user_sgpr_private_segment_buffer 1
		.amdhsa_user_sgpr_dispatch_ptr 0
		.amdhsa_user_sgpr_queue_ptr 0
		.amdhsa_user_sgpr_kernarg_segment_ptr 1
		.amdhsa_user_sgpr_dispatch_id 0
		.amdhsa_user_sgpr_flat_scratch_init 0
		.amdhsa_user_sgpr_kernarg_preload_length 0
		.amdhsa_user_sgpr_kernarg_preload_offset 0
		.amdhsa_user_sgpr_private_segment_size 0
		.amdhsa_uses_dynamic_stack 0
		.amdhsa_system_sgpr_private_segment_wavefront_offset 0
		.amdhsa_system_sgpr_workgroup_id_x 1
		.amdhsa_system_sgpr_workgroup_id_y 0
		.amdhsa_system_sgpr_workgroup_id_z 0
		.amdhsa_system_sgpr_workgroup_info 0
		.amdhsa_system_vgpr_workitem_id 0
		.amdhsa_next_free_vgpr 5
		.amdhsa_next_free_sgpr 8
		.amdhsa_accum_offset 8
		.amdhsa_reserve_vcc 1
		.amdhsa_reserve_flat_scratch 0
		.amdhsa_float_round_mode_32 0
		.amdhsa_float_round_mode_16_64 0
		.amdhsa_float_denorm_mode_32 3
		.amdhsa_float_denorm_mode_16_64 3
		.amdhsa_dx10_clamp 1
		.amdhsa_ieee_mode 1
		.amdhsa_fp16_overflow 0
		.amdhsa_tg_split 0
		.amdhsa_exception_fp_ieee_invalid_op 0
		.amdhsa_exception_fp_denorm_src 0
		.amdhsa_exception_fp_ieee_div_zero 0
		.amdhsa_exception_fp_ieee_overflow 0
		.amdhsa_exception_fp_ieee_underflow 0
		.amdhsa_exception_fp_ieee_inexact 0
		.amdhsa_exception_int_div_zero 0
	.end_amdhsa_kernel
	.section	.text._Z20shuffle_index_kernelILj32EfEvPT0_Pi,"axG",@progbits,_Z20shuffle_index_kernelILj32EfEvPT0_Pi,comdat
.Lfunc_end40:
	.size	_Z20shuffle_index_kernelILj32EfEvPT0_Pi, .Lfunc_end40-_Z20shuffle_index_kernelILj32EfEvPT0_Pi
                                        ; -- End function
	.section	.AMDGPU.csdata,"",@progbits
; Kernel info:
; codeLenInByte = 156
; NumSgprs: 12
; NumVgprs: 5
; NumAgprs: 0
; TotalNumVgprs: 5
; ScratchSize: 0
; MemoryBound: 0
; FloatMode: 240
; IeeeMode: 1
; LDSByteSize: 0 bytes/workgroup (compile time only)
; SGPRBlocks: 1
; VGPRBlocks: 0
; NumSGPRsForWavesPerEU: 12
; NumVGPRsForWavesPerEU: 5
; AccumOffset: 8
; Occupancy: 8
; WaveLimiterHint : 0
; COMPUTE_PGM_RSRC2:SCRATCH_EN: 0
; COMPUTE_PGM_RSRC2:USER_SGPR: 6
; COMPUTE_PGM_RSRC2:TRAP_HANDLER: 0
; COMPUTE_PGM_RSRC2:TGID_X_EN: 1
; COMPUTE_PGM_RSRC2:TGID_Y_EN: 0
; COMPUTE_PGM_RSRC2:TGID_Z_EN: 0
; COMPUTE_PGM_RSRC2:TIDIG_COMP_CNT: 0
; COMPUTE_PGM_RSRC3_GFX90A:ACCUM_OFFSET: 1
; COMPUTE_PGM_RSRC3_GFX90A:TG_SPLIT: 0
	.section	.text._Z20shuffle_index_kernelILj2EiEvPT0_Pi,"axG",@progbits,_Z20shuffle_index_kernelILj2EiEvPT0_Pi,comdat
	.protected	_Z20shuffle_index_kernelILj2EiEvPT0_Pi ; -- Begin function _Z20shuffle_index_kernelILj2EiEvPT0_Pi
	.globl	_Z20shuffle_index_kernelILj2EiEvPT0_Pi
	.p2align	8
	.type	_Z20shuffle_index_kernelILj2EiEvPT0_Pi,@function
_Z20shuffle_index_kernelILj2EiEvPT0_Pi: ; @_Z20shuffle_index_kernelILj2EiEvPT0_Pi
; %bb.0:
	s_load_dword s7, s[4:5], 0x1c
	s_load_dwordx4 s[0:3], s[4:5], 0x0
	v_mov_b32_e32 v3, 0
	s_waitcnt lgkmcnt(0)
	s_and_b32 s4, s7, 0xffff
	s_mul_i32 s6, s6, s4
	v_add_u32_e32 v2, s6, v0
	v_lshlrev_b32_e32 v0, 1, v0
	v_and_b32_e32 v0, 0x7fc, v0
	v_lshlrev_b64 v[2:3], 2, v[2:3]
	global_load_dword v4, v0, s[2:3]
	v_mov_b32_e32 v1, s1
	v_add_co_u32_e32 v0, vcc, s0, v2
	v_addc_co_u32_e32 v1, vcc, v1, v3, vcc
	global_load_dword v2, v[0:1], off
	v_mbcnt_lo_u32_b32 v3, -1, 0
	v_mbcnt_hi_u32_b32 v3, -1, v3
	s_movk_i32 s0, 0x7e
	s_waitcnt vmcnt(1)
	v_and_b32_e32 v4, 1, v4
	v_and_or_b32 v3, v3, s0, v4
	v_lshlrev_b32_e32 v3, 2, v3
	s_waitcnt vmcnt(0)
	ds_bpermute_b32 v2, v3, v2
	s_waitcnt lgkmcnt(0)
	global_store_dword v[0:1], v2, off
	s_endpgm
	.section	.rodata,"a",@progbits
	.p2align	6, 0x0
	.amdhsa_kernel _Z20shuffle_index_kernelILj2EiEvPT0_Pi
		.amdhsa_group_segment_fixed_size 0
		.amdhsa_private_segment_fixed_size 0
		.amdhsa_kernarg_size 272
		.amdhsa_user_sgpr_count 6
		.amdhsa_user_sgpr_private_segment_buffer 1
		.amdhsa_user_sgpr_dispatch_ptr 0
		.amdhsa_user_sgpr_queue_ptr 0
		.amdhsa_user_sgpr_kernarg_segment_ptr 1
		.amdhsa_user_sgpr_dispatch_id 0
		.amdhsa_user_sgpr_flat_scratch_init 0
		.amdhsa_user_sgpr_kernarg_preload_length 0
		.amdhsa_user_sgpr_kernarg_preload_offset 0
		.amdhsa_user_sgpr_private_segment_size 0
		.amdhsa_uses_dynamic_stack 0
		.amdhsa_system_sgpr_private_segment_wavefront_offset 0
		.amdhsa_system_sgpr_workgroup_id_x 1
		.amdhsa_system_sgpr_workgroup_id_y 0
		.amdhsa_system_sgpr_workgroup_id_z 0
		.amdhsa_system_sgpr_workgroup_info 0
		.amdhsa_system_vgpr_workitem_id 0
		.amdhsa_next_free_vgpr 5
		.amdhsa_next_free_sgpr 8
		.amdhsa_accum_offset 8
		.amdhsa_reserve_vcc 1
		.amdhsa_reserve_flat_scratch 0
		.amdhsa_float_round_mode_32 0
		.amdhsa_float_round_mode_16_64 0
		.amdhsa_float_denorm_mode_32 3
		.amdhsa_float_denorm_mode_16_64 3
		.amdhsa_dx10_clamp 1
		.amdhsa_ieee_mode 1
		.amdhsa_fp16_overflow 0
		.amdhsa_tg_split 0
		.amdhsa_exception_fp_ieee_invalid_op 0
		.amdhsa_exception_fp_denorm_src 0
		.amdhsa_exception_fp_ieee_div_zero 0
		.amdhsa_exception_fp_ieee_overflow 0
		.amdhsa_exception_fp_ieee_underflow 0
		.amdhsa_exception_fp_ieee_inexact 0
		.amdhsa_exception_int_div_zero 0
	.end_amdhsa_kernel
	.section	.text._Z20shuffle_index_kernelILj2EiEvPT0_Pi,"axG",@progbits,_Z20shuffle_index_kernelILj2EiEvPT0_Pi,comdat
.Lfunc_end41:
	.size	_Z20shuffle_index_kernelILj2EiEvPT0_Pi, .Lfunc_end41-_Z20shuffle_index_kernelILj2EiEvPT0_Pi
                                        ; -- End function
	.section	.AMDGPU.csdata,"",@progbits
; Kernel info:
; codeLenInByte = 156
; NumSgprs: 12
; NumVgprs: 5
; NumAgprs: 0
; TotalNumVgprs: 5
; ScratchSize: 0
; MemoryBound: 0
; FloatMode: 240
; IeeeMode: 1
; LDSByteSize: 0 bytes/workgroup (compile time only)
; SGPRBlocks: 1
; VGPRBlocks: 0
; NumSGPRsForWavesPerEU: 12
; NumVGPRsForWavesPerEU: 5
; AccumOffset: 8
; Occupancy: 8
; WaveLimiterHint : 0
; COMPUTE_PGM_RSRC2:SCRATCH_EN: 0
; COMPUTE_PGM_RSRC2:USER_SGPR: 6
; COMPUTE_PGM_RSRC2:TRAP_HANDLER: 0
; COMPUTE_PGM_RSRC2:TGID_X_EN: 1
; COMPUTE_PGM_RSRC2:TGID_Y_EN: 0
; COMPUTE_PGM_RSRC2:TGID_Z_EN: 0
; COMPUTE_PGM_RSRC2:TIDIG_COMP_CNT: 0
; COMPUTE_PGM_RSRC3_GFX90A:ACCUM_OFFSET: 1
; COMPUTE_PGM_RSRC3_GFX90A:TG_SPLIT: 0
	.section	.text._Z20shuffle_index_kernelILj4EiEvPT0_Pi,"axG",@progbits,_Z20shuffle_index_kernelILj4EiEvPT0_Pi,comdat
	.protected	_Z20shuffle_index_kernelILj4EiEvPT0_Pi ; -- Begin function _Z20shuffle_index_kernelILj4EiEvPT0_Pi
	.globl	_Z20shuffle_index_kernelILj4EiEvPT0_Pi
	.p2align	8
	.type	_Z20shuffle_index_kernelILj4EiEvPT0_Pi,@function
_Z20shuffle_index_kernelILj4EiEvPT0_Pi: ; @_Z20shuffle_index_kernelILj4EiEvPT0_Pi
; %bb.0:
	s_load_dword s7, s[4:5], 0x1c
	s_load_dwordx4 s[0:3], s[4:5], 0x0
	v_mov_b32_e32 v3, 0
	s_waitcnt lgkmcnt(0)
	s_and_b32 s4, s7, 0xffff
	s_mul_i32 s6, s6, s4
	v_add_u32_e32 v2, s6, v0
	v_and_b32_e32 v0, 0x3fc, v0
	v_lshlrev_b64 v[2:3], 2, v[2:3]
	global_load_dword v4, v0, s[2:3]
	v_mov_b32_e32 v1, s1
	v_add_co_u32_e32 v0, vcc, s0, v2
	v_addc_co_u32_e32 v1, vcc, v1, v3, vcc
	global_load_dword v2, v[0:1], off
	v_mbcnt_lo_u32_b32 v3, -1, 0
	v_mbcnt_hi_u32_b32 v3, -1, v3
	s_movk_i32 s0, 0x7c
	s_waitcnt vmcnt(1)
	v_and_b32_e32 v4, 3, v4
	v_and_or_b32 v3, v3, s0, v4
	v_lshlrev_b32_e32 v3, 2, v3
	s_waitcnt vmcnt(0)
	ds_bpermute_b32 v2, v3, v2
	s_waitcnt lgkmcnt(0)
	global_store_dword v[0:1], v2, off
	s_endpgm
	.section	.rodata,"a",@progbits
	.p2align	6, 0x0
	.amdhsa_kernel _Z20shuffle_index_kernelILj4EiEvPT0_Pi
		.amdhsa_group_segment_fixed_size 0
		.amdhsa_private_segment_fixed_size 0
		.amdhsa_kernarg_size 272
		.amdhsa_user_sgpr_count 6
		.amdhsa_user_sgpr_private_segment_buffer 1
		.amdhsa_user_sgpr_dispatch_ptr 0
		.amdhsa_user_sgpr_queue_ptr 0
		.amdhsa_user_sgpr_kernarg_segment_ptr 1
		.amdhsa_user_sgpr_dispatch_id 0
		.amdhsa_user_sgpr_flat_scratch_init 0
		.amdhsa_user_sgpr_kernarg_preload_length 0
		.amdhsa_user_sgpr_kernarg_preload_offset 0
		.amdhsa_user_sgpr_private_segment_size 0
		.amdhsa_uses_dynamic_stack 0
		.amdhsa_system_sgpr_private_segment_wavefront_offset 0
		.amdhsa_system_sgpr_workgroup_id_x 1
		.amdhsa_system_sgpr_workgroup_id_y 0
		.amdhsa_system_sgpr_workgroup_id_z 0
		.amdhsa_system_sgpr_workgroup_info 0
		.amdhsa_system_vgpr_workitem_id 0
		.amdhsa_next_free_vgpr 5
		.amdhsa_next_free_sgpr 8
		.amdhsa_accum_offset 8
		.amdhsa_reserve_vcc 1
		.amdhsa_reserve_flat_scratch 0
		.amdhsa_float_round_mode_32 0
		.amdhsa_float_round_mode_16_64 0
		.amdhsa_float_denorm_mode_32 3
		.amdhsa_float_denorm_mode_16_64 3
		.amdhsa_dx10_clamp 1
		.amdhsa_ieee_mode 1
		.amdhsa_fp16_overflow 0
		.amdhsa_tg_split 0
		.amdhsa_exception_fp_ieee_invalid_op 0
		.amdhsa_exception_fp_denorm_src 0
		.amdhsa_exception_fp_ieee_div_zero 0
		.amdhsa_exception_fp_ieee_overflow 0
		.amdhsa_exception_fp_ieee_underflow 0
		.amdhsa_exception_fp_ieee_inexact 0
		.amdhsa_exception_int_div_zero 0
	.end_amdhsa_kernel
	.section	.text._Z20shuffle_index_kernelILj4EiEvPT0_Pi,"axG",@progbits,_Z20shuffle_index_kernelILj4EiEvPT0_Pi,comdat
.Lfunc_end42:
	.size	_Z20shuffle_index_kernelILj4EiEvPT0_Pi, .Lfunc_end42-_Z20shuffle_index_kernelILj4EiEvPT0_Pi
                                        ; -- End function
	.section	.AMDGPU.csdata,"",@progbits
; Kernel info:
; codeLenInByte = 152
; NumSgprs: 12
; NumVgprs: 5
; NumAgprs: 0
; TotalNumVgprs: 5
; ScratchSize: 0
; MemoryBound: 0
; FloatMode: 240
; IeeeMode: 1
; LDSByteSize: 0 bytes/workgroup (compile time only)
; SGPRBlocks: 1
; VGPRBlocks: 0
; NumSGPRsForWavesPerEU: 12
; NumVGPRsForWavesPerEU: 5
; AccumOffset: 8
; Occupancy: 8
; WaveLimiterHint : 0
; COMPUTE_PGM_RSRC2:SCRATCH_EN: 0
; COMPUTE_PGM_RSRC2:USER_SGPR: 6
; COMPUTE_PGM_RSRC2:TRAP_HANDLER: 0
; COMPUTE_PGM_RSRC2:TGID_X_EN: 1
; COMPUTE_PGM_RSRC2:TGID_Y_EN: 0
; COMPUTE_PGM_RSRC2:TGID_Z_EN: 0
; COMPUTE_PGM_RSRC2:TIDIG_COMP_CNT: 0
; COMPUTE_PGM_RSRC3_GFX90A:ACCUM_OFFSET: 1
; COMPUTE_PGM_RSRC3_GFX90A:TG_SPLIT: 0
	.section	.text._Z20shuffle_index_kernelILj8EiEvPT0_Pi,"axG",@progbits,_Z20shuffle_index_kernelILj8EiEvPT0_Pi,comdat
	.protected	_Z20shuffle_index_kernelILj8EiEvPT0_Pi ; -- Begin function _Z20shuffle_index_kernelILj8EiEvPT0_Pi
	.globl	_Z20shuffle_index_kernelILj8EiEvPT0_Pi
	.p2align	8
	.type	_Z20shuffle_index_kernelILj8EiEvPT0_Pi,@function
_Z20shuffle_index_kernelILj8EiEvPT0_Pi: ; @_Z20shuffle_index_kernelILj8EiEvPT0_Pi
; %bb.0:
	s_load_dword s7, s[4:5], 0x1c
	s_load_dwordx4 s[0:3], s[4:5], 0x0
	v_mov_b32_e32 v3, 0
	s_waitcnt lgkmcnt(0)
	s_and_b32 s4, s7, 0xffff
	s_mul_i32 s6, s6, s4
	v_add_u32_e32 v2, s6, v0
	v_lshrrev_b32_e32 v0, 1, v0
	v_and_b32_e32 v0, 0x1fc, v0
	v_lshlrev_b64 v[2:3], 2, v[2:3]
	global_load_dword v4, v0, s[2:3]
	v_mov_b32_e32 v1, s1
	v_add_co_u32_e32 v0, vcc, s0, v2
	v_addc_co_u32_e32 v1, vcc, v1, v3, vcc
	global_load_dword v2, v[0:1], off
	v_mbcnt_lo_u32_b32 v3, -1, 0
	v_mbcnt_hi_u32_b32 v3, -1, v3
	s_movk_i32 s0, 0x78
	s_waitcnt vmcnt(1)
	v_and_b32_e32 v4, 7, v4
	v_and_or_b32 v3, v3, s0, v4
	v_lshlrev_b32_e32 v3, 2, v3
	s_waitcnt vmcnt(0)
	ds_bpermute_b32 v2, v3, v2
	s_waitcnt lgkmcnt(0)
	global_store_dword v[0:1], v2, off
	s_endpgm
	.section	.rodata,"a",@progbits
	.p2align	6, 0x0
	.amdhsa_kernel _Z20shuffle_index_kernelILj8EiEvPT0_Pi
		.amdhsa_group_segment_fixed_size 0
		.amdhsa_private_segment_fixed_size 0
		.amdhsa_kernarg_size 272
		.amdhsa_user_sgpr_count 6
		.amdhsa_user_sgpr_private_segment_buffer 1
		.amdhsa_user_sgpr_dispatch_ptr 0
		.amdhsa_user_sgpr_queue_ptr 0
		.amdhsa_user_sgpr_kernarg_segment_ptr 1
		.amdhsa_user_sgpr_dispatch_id 0
		.amdhsa_user_sgpr_flat_scratch_init 0
		.amdhsa_user_sgpr_kernarg_preload_length 0
		.amdhsa_user_sgpr_kernarg_preload_offset 0
		.amdhsa_user_sgpr_private_segment_size 0
		.amdhsa_uses_dynamic_stack 0
		.amdhsa_system_sgpr_private_segment_wavefront_offset 0
		.amdhsa_system_sgpr_workgroup_id_x 1
		.amdhsa_system_sgpr_workgroup_id_y 0
		.amdhsa_system_sgpr_workgroup_id_z 0
		.amdhsa_system_sgpr_workgroup_info 0
		.amdhsa_system_vgpr_workitem_id 0
		.amdhsa_next_free_vgpr 5
		.amdhsa_next_free_sgpr 8
		.amdhsa_accum_offset 8
		.amdhsa_reserve_vcc 1
		.amdhsa_reserve_flat_scratch 0
		.amdhsa_float_round_mode_32 0
		.amdhsa_float_round_mode_16_64 0
		.amdhsa_float_denorm_mode_32 3
		.amdhsa_float_denorm_mode_16_64 3
		.amdhsa_dx10_clamp 1
		.amdhsa_ieee_mode 1
		.amdhsa_fp16_overflow 0
		.amdhsa_tg_split 0
		.amdhsa_exception_fp_ieee_invalid_op 0
		.amdhsa_exception_fp_denorm_src 0
		.amdhsa_exception_fp_ieee_div_zero 0
		.amdhsa_exception_fp_ieee_overflow 0
		.amdhsa_exception_fp_ieee_underflow 0
		.amdhsa_exception_fp_ieee_inexact 0
		.amdhsa_exception_int_div_zero 0
	.end_amdhsa_kernel
	.section	.text._Z20shuffle_index_kernelILj8EiEvPT0_Pi,"axG",@progbits,_Z20shuffle_index_kernelILj8EiEvPT0_Pi,comdat
.Lfunc_end43:
	.size	_Z20shuffle_index_kernelILj8EiEvPT0_Pi, .Lfunc_end43-_Z20shuffle_index_kernelILj8EiEvPT0_Pi
                                        ; -- End function
	.section	.AMDGPU.csdata,"",@progbits
; Kernel info:
; codeLenInByte = 156
; NumSgprs: 12
; NumVgprs: 5
; NumAgprs: 0
; TotalNumVgprs: 5
; ScratchSize: 0
; MemoryBound: 0
; FloatMode: 240
; IeeeMode: 1
; LDSByteSize: 0 bytes/workgroup (compile time only)
; SGPRBlocks: 1
; VGPRBlocks: 0
; NumSGPRsForWavesPerEU: 12
; NumVGPRsForWavesPerEU: 5
; AccumOffset: 8
; Occupancy: 8
; WaveLimiterHint : 0
; COMPUTE_PGM_RSRC2:SCRATCH_EN: 0
; COMPUTE_PGM_RSRC2:USER_SGPR: 6
; COMPUTE_PGM_RSRC2:TRAP_HANDLER: 0
; COMPUTE_PGM_RSRC2:TGID_X_EN: 1
; COMPUTE_PGM_RSRC2:TGID_Y_EN: 0
; COMPUTE_PGM_RSRC2:TGID_Z_EN: 0
; COMPUTE_PGM_RSRC2:TIDIG_COMP_CNT: 0
; COMPUTE_PGM_RSRC3_GFX90A:ACCUM_OFFSET: 1
; COMPUTE_PGM_RSRC3_GFX90A:TG_SPLIT: 0
	.section	.text._Z20shuffle_index_kernelILj16EiEvPT0_Pi,"axG",@progbits,_Z20shuffle_index_kernelILj16EiEvPT0_Pi,comdat
	.protected	_Z20shuffle_index_kernelILj16EiEvPT0_Pi ; -- Begin function _Z20shuffle_index_kernelILj16EiEvPT0_Pi
	.globl	_Z20shuffle_index_kernelILj16EiEvPT0_Pi
	.p2align	8
	.type	_Z20shuffle_index_kernelILj16EiEvPT0_Pi,@function
_Z20shuffle_index_kernelILj16EiEvPT0_Pi: ; @_Z20shuffle_index_kernelILj16EiEvPT0_Pi
; %bb.0:
	s_load_dword s7, s[4:5], 0x1c
	s_load_dwordx4 s[0:3], s[4:5], 0x0
	v_mov_b32_e32 v3, 0
	s_waitcnt lgkmcnt(0)
	s_and_b32 s4, s7, 0xffff
	s_mul_i32 s6, s6, s4
	v_add_u32_e32 v2, s6, v0
	v_lshrrev_b32_e32 v0, 2, v0
	v_and_b32_e32 v0, 0xfc, v0
	v_lshlrev_b64 v[2:3], 2, v[2:3]
	global_load_dword v4, v0, s[2:3]
	v_mov_b32_e32 v1, s1
	v_add_co_u32_e32 v0, vcc, s0, v2
	v_addc_co_u32_e32 v1, vcc, v1, v3, vcc
	global_load_dword v2, v[0:1], off
	v_mbcnt_lo_u32_b32 v3, -1, 0
	v_mbcnt_hi_u32_b32 v3, -1, v3
	s_movk_i32 s0, 0x70
	s_waitcnt vmcnt(1)
	v_and_b32_e32 v4, 15, v4
	v_and_or_b32 v3, v3, s0, v4
	v_lshlrev_b32_e32 v3, 2, v3
	s_waitcnt vmcnt(0)
	ds_bpermute_b32 v2, v3, v2
	s_waitcnt lgkmcnt(0)
	global_store_dword v[0:1], v2, off
	s_endpgm
	.section	.rodata,"a",@progbits
	.p2align	6, 0x0
	.amdhsa_kernel _Z20shuffle_index_kernelILj16EiEvPT0_Pi
		.amdhsa_group_segment_fixed_size 0
		.amdhsa_private_segment_fixed_size 0
		.amdhsa_kernarg_size 272
		.amdhsa_user_sgpr_count 6
		.amdhsa_user_sgpr_private_segment_buffer 1
		.amdhsa_user_sgpr_dispatch_ptr 0
		.amdhsa_user_sgpr_queue_ptr 0
		.amdhsa_user_sgpr_kernarg_segment_ptr 1
		.amdhsa_user_sgpr_dispatch_id 0
		.amdhsa_user_sgpr_flat_scratch_init 0
		.amdhsa_user_sgpr_kernarg_preload_length 0
		.amdhsa_user_sgpr_kernarg_preload_offset 0
		.amdhsa_user_sgpr_private_segment_size 0
		.amdhsa_uses_dynamic_stack 0
		.amdhsa_system_sgpr_private_segment_wavefront_offset 0
		.amdhsa_system_sgpr_workgroup_id_x 1
		.amdhsa_system_sgpr_workgroup_id_y 0
		.amdhsa_system_sgpr_workgroup_id_z 0
		.amdhsa_system_sgpr_workgroup_info 0
		.amdhsa_system_vgpr_workitem_id 0
		.amdhsa_next_free_vgpr 5
		.amdhsa_next_free_sgpr 8
		.amdhsa_accum_offset 8
		.amdhsa_reserve_vcc 1
		.amdhsa_reserve_flat_scratch 0
		.amdhsa_float_round_mode_32 0
		.amdhsa_float_round_mode_16_64 0
		.amdhsa_float_denorm_mode_32 3
		.amdhsa_float_denorm_mode_16_64 3
		.amdhsa_dx10_clamp 1
		.amdhsa_ieee_mode 1
		.amdhsa_fp16_overflow 0
		.amdhsa_tg_split 0
		.amdhsa_exception_fp_ieee_invalid_op 0
		.amdhsa_exception_fp_denorm_src 0
		.amdhsa_exception_fp_ieee_div_zero 0
		.amdhsa_exception_fp_ieee_overflow 0
		.amdhsa_exception_fp_ieee_underflow 0
		.amdhsa_exception_fp_ieee_inexact 0
		.amdhsa_exception_int_div_zero 0
	.end_amdhsa_kernel
	.section	.text._Z20shuffle_index_kernelILj16EiEvPT0_Pi,"axG",@progbits,_Z20shuffle_index_kernelILj16EiEvPT0_Pi,comdat
.Lfunc_end44:
	.size	_Z20shuffle_index_kernelILj16EiEvPT0_Pi, .Lfunc_end44-_Z20shuffle_index_kernelILj16EiEvPT0_Pi
                                        ; -- End function
	.section	.AMDGPU.csdata,"",@progbits
; Kernel info:
; codeLenInByte = 156
; NumSgprs: 12
; NumVgprs: 5
; NumAgprs: 0
; TotalNumVgprs: 5
; ScratchSize: 0
; MemoryBound: 0
; FloatMode: 240
; IeeeMode: 1
; LDSByteSize: 0 bytes/workgroup (compile time only)
; SGPRBlocks: 1
; VGPRBlocks: 0
; NumSGPRsForWavesPerEU: 12
; NumVGPRsForWavesPerEU: 5
; AccumOffset: 8
; Occupancy: 8
; WaveLimiterHint : 0
; COMPUTE_PGM_RSRC2:SCRATCH_EN: 0
; COMPUTE_PGM_RSRC2:USER_SGPR: 6
; COMPUTE_PGM_RSRC2:TRAP_HANDLER: 0
; COMPUTE_PGM_RSRC2:TGID_X_EN: 1
; COMPUTE_PGM_RSRC2:TGID_Y_EN: 0
; COMPUTE_PGM_RSRC2:TGID_Z_EN: 0
; COMPUTE_PGM_RSRC2:TIDIG_COMP_CNT: 0
; COMPUTE_PGM_RSRC3_GFX90A:ACCUM_OFFSET: 1
; COMPUTE_PGM_RSRC3_GFX90A:TG_SPLIT: 0
	.section	.text._Z20shuffle_index_kernelILj32EiEvPT0_Pi,"axG",@progbits,_Z20shuffle_index_kernelILj32EiEvPT0_Pi,comdat
	.protected	_Z20shuffle_index_kernelILj32EiEvPT0_Pi ; -- Begin function _Z20shuffle_index_kernelILj32EiEvPT0_Pi
	.globl	_Z20shuffle_index_kernelILj32EiEvPT0_Pi
	.p2align	8
	.type	_Z20shuffle_index_kernelILj32EiEvPT0_Pi,@function
_Z20shuffle_index_kernelILj32EiEvPT0_Pi: ; @_Z20shuffle_index_kernelILj32EiEvPT0_Pi
; %bb.0:
	s_load_dword s7, s[4:5], 0x1c
	s_load_dwordx4 s[0:3], s[4:5], 0x0
	v_mov_b32_e32 v3, 0
	s_waitcnt lgkmcnt(0)
	s_and_b32 s4, s7, 0xffff
	s_mul_i32 s6, s6, s4
	v_add_u32_e32 v2, s6, v0
	v_lshrrev_b32_e32 v0, 3, v0
	v_and_b32_e32 v0, 0x7c, v0
	v_lshlrev_b64 v[2:3], 2, v[2:3]
	global_load_dword v4, v0, s[2:3]
	v_mov_b32_e32 v1, s1
	v_add_co_u32_e32 v0, vcc, s0, v2
	v_addc_co_u32_e32 v1, vcc, v1, v3, vcc
	global_load_dword v2, v[0:1], off
	v_mbcnt_lo_u32_b32 v3, -1, 0
	v_mbcnt_hi_u32_b32 v3, -1, v3
	s_movk_i32 s0, 0x60
	s_waitcnt vmcnt(1)
	v_and_b32_e32 v4, 31, v4
	v_and_or_b32 v3, v3, s0, v4
	v_lshlrev_b32_e32 v3, 2, v3
	s_waitcnt vmcnt(0)
	ds_bpermute_b32 v2, v3, v2
	s_waitcnt lgkmcnt(0)
	global_store_dword v[0:1], v2, off
	s_endpgm
	.section	.rodata,"a",@progbits
	.p2align	6, 0x0
	.amdhsa_kernel _Z20shuffle_index_kernelILj32EiEvPT0_Pi
		.amdhsa_group_segment_fixed_size 0
		.amdhsa_private_segment_fixed_size 0
		.amdhsa_kernarg_size 272
		.amdhsa_user_sgpr_count 6
		.amdhsa_user_sgpr_private_segment_buffer 1
		.amdhsa_user_sgpr_dispatch_ptr 0
		.amdhsa_user_sgpr_queue_ptr 0
		.amdhsa_user_sgpr_kernarg_segment_ptr 1
		.amdhsa_user_sgpr_dispatch_id 0
		.amdhsa_user_sgpr_flat_scratch_init 0
		.amdhsa_user_sgpr_kernarg_preload_length 0
		.amdhsa_user_sgpr_kernarg_preload_offset 0
		.amdhsa_user_sgpr_private_segment_size 0
		.amdhsa_uses_dynamic_stack 0
		.amdhsa_system_sgpr_private_segment_wavefront_offset 0
		.amdhsa_system_sgpr_workgroup_id_x 1
		.amdhsa_system_sgpr_workgroup_id_y 0
		.amdhsa_system_sgpr_workgroup_id_z 0
		.amdhsa_system_sgpr_workgroup_info 0
		.amdhsa_system_vgpr_workitem_id 0
		.amdhsa_next_free_vgpr 5
		.amdhsa_next_free_sgpr 8
		.amdhsa_accum_offset 8
		.amdhsa_reserve_vcc 1
		.amdhsa_reserve_flat_scratch 0
		.amdhsa_float_round_mode_32 0
		.amdhsa_float_round_mode_16_64 0
		.amdhsa_float_denorm_mode_32 3
		.amdhsa_float_denorm_mode_16_64 3
		.amdhsa_dx10_clamp 1
		.amdhsa_ieee_mode 1
		.amdhsa_fp16_overflow 0
		.amdhsa_tg_split 0
		.amdhsa_exception_fp_ieee_invalid_op 0
		.amdhsa_exception_fp_denorm_src 0
		.amdhsa_exception_fp_ieee_div_zero 0
		.amdhsa_exception_fp_ieee_overflow 0
		.amdhsa_exception_fp_ieee_underflow 0
		.amdhsa_exception_fp_ieee_inexact 0
		.amdhsa_exception_int_div_zero 0
	.end_amdhsa_kernel
	.section	.text._Z20shuffle_index_kernelILj32EiEvPT0_Pi,"axG",@progbits,_Z20shuffle_index_kernelILj32EiEvPT0_Pi,comdat
.Lfunc_end45:
	.size	_Z20shuffle_index_kernelILj32EiEvPT0_Pi, .Lfunc_end45-_Z20shuffle_index_kernelILj32EiEvPT0_Pi
                                        ; -- End function
	.section	.AMDGPU.csdata,"",@progbits
; Kernel info:
; codeLenInByte = 156
; NumSgprs: 12
; NumVgprs: 5
; NumAgprs: 0
; TotalNumVgprs: 5
; ScratchSize: 0
; MemoryBound: 0
; FloatMode: 240
; IeeeMode: 1
; LDSByteSize: 0 bytes/workgroup (compile time only)
; SGPRBlocks: 1
; VGPRBlocks: 0
; NumSGPRsForWavesPerEU: 12
; NumVGPRsForWavesPerEU: 5
; AccumOffset: 8
; Occupancy: 8
; WaveLimiterHint : 0
; COMPUTE_PGM_RSRC2:SCRATCH_EN: 0
; COMPUTE_PGM_RSRC2:USER_SGPR: 6
; COMPUTE_PGM_RSRC2:TRAP_HANDLER: 0
; COMPUTE_PGM_RSRC2:TGID_X_EN: 1
; COMPUTE_PGM_RSRC2:TGID_Y_EN: 0
; COMPUTE_PGM_RSRC2:TGID_Z_EN: 0
; COMPUTE_PGM_RSRC2:TIDIG_COMP_CNT: 0
; COMPUTE_PGM_RSRC3_GFX90A:ACCUM_OFFSET: 1
; COMPUTE_PGM_RSRC3_GFX90A:TG_SPLIT: 0
	.section	.text._Z17shuffle_up_kernelILj32E17custom_notalignedEvPT0_j,"axG",@progbits,_Z17shuffle_up_kernelILj32E17custom_notalignedEvPT0_j,comdat
	.protected	_Z17shuffle_up_kernelILj32E17custom_notalignedEvPT0_j ; -- Begin function _Z17shuffle_up_kernelILj32E17custom_notalignedEvPT0_j
	.globl	_Z17shuffle_up_kernelILj32E17custom_notalignedEvPT0_j
	.p2align	8
	.type	_Z17shuffle_up_kernelILj32E17custom_notalignedEvPT0_j,@function
_Z17shuffle_up_kernelILj32E17custom_notalignedEvPT0_j: ; @_Z17shuffle_up_kernelILj32E17custom_notalignedEvPT0_j
; %bb.0:
	s_load_dword s2, s[4:5], 0x1c
	s_load_dwordx2 s[0:1], s[4:5], 0x0
	s_load_dword s3, s[4:5], 0x8
	v_mbcnt_lo_u32_b32 v8, -1, 0
	v_mbcnt_hi_u32_b32 v8, -1, v8
	s_waitcnt lgkmcnt(0)
	s_and_b32 s2, s2, 0xffff
	s_mul_i32 s6, s6, s2
	v_add_u32_e32 v0, s6, v0
	v_mad_u64_u32 v[4:5], s[0:1], v0, 24, s[0:1]
	global_load_dwordx4 v[0:3], v[4:5], off
	global_load_dwordx2 v[6:7], v[4:5], off offset:16
	v_and_b32_e32 v9, 0x60, v8
	v_subrev_u32_e32 v10, s3, v8
	v_cmp_lt_i32_e32 vcc, v10, v9
	v_cndmask_b32_e32 v8, v10, v8, vcc
	v_lshlrev_b32_e32 v8, 2, v8
	s_waitcnt vmcnt(1)
	ds_bpermute_b32 v0, v8, v0
	ds_bpermute_b32 v1, v8, v1
	;; [unrolled: 1-line block ×4, first 2 shown]
	s_waitcnt vmcnt(0)
	ds_bpermute_b32 v6, v8, v6
	ds_bpermute_b32 v7, v8, v7
	s_waitcnt lgkmcnt(2)
	global_store_dwordx4 v[4:5], v[0:3], off
	s_waitcnt lgkmcnt(0)
	global_store_dwordx2 v[4:5], v[6:7], off offset:16
	s_endpgm
	.section	.rodata,"a",@progbits
	.p2align	6, 0x0
	.amdhsa_kernel _Z17shuffle_up_kernelILj32E17custom_notalignedEvPT0_j
		.amdhsa_group_segment_fixed_size 0
		.amdhsa_private_segment_fixed_size 0
		.amdhsa_kernarg_size 272
		.amdhsa_user_sgpr_count 6
		.amdhsa_user_sgpr_private_segment_buffer 1
		.amdhsa_user_sgpr_dispatch_ptr 0
		.amdhsa_user_sgpr_queue_ptr 0
		.amdhsa_user_sgpr_kernarg_segment_ptr 1
		.amdhsa_user_sgpr_dispatch_id 0
		.amdhsa_user_sgpr_flat_scratch_init 0
		.amdhsa_user_sgpr_kernarg_preload_length 0
		.amdhsa_user_sgpr_kernarg_preload_offset 0
		.amdhsa_user_sgpr_private_segment_size 0
		.amdhsa_uses_dynamic_stack 0
		.amdhsa_system_sgpr_private_segment_wavefront_offset 0
		.amdhsa_system_sgpr_workgroup_id_x 1
		.amdhsa_system_sgpr_workgroup_id_y 0
		.amdhsa_system_sgpr_workgroup_id_z 0
		.amdhsa_system_sgpr_workgroup_info 0
		.amdhsa_system_vgpr_workitem_id 0
		.amdhsa_next_free_vgpr 11
		.amdhsa_next_free_sgpr 7
		.amdhsa_accum_offset 12
		.amdhsa_reserve_vcc 1
		.amdhsa_reserve_flat_scratch 0
		.amdhsa_float_round_mode_32 0
		.amdhsa_float_round_mode_16_64 0
		.amdhsa_float_denorm_mode_32 3
		.amdhsa_float_denorm_mode_16_64 3
		.amdhsa_dx10_clamp 1
		.amdhsa_ieee_mode 1
		.amdhsa_fp16_overflow 0
		.amdhsa_tg_split 0
		.amdhsa_exception_fp_ieee_invalid_op 0
		.amdhsa_exception_fp_denorm_src 0
		.amdhsa_exception_fp_ieee_div_zero 0
		.amdhsa_exception_fp_ieee_overflow 0
		.amdhsa_exception_fp_ieee_underflow 0
		.amdhsa_exception_fp_ieee_inexact 0
		.amdhsa_exception_int_div_zero 0
	.end_amdhsa_kernel
	.section	.text._Z17shuffle_up_kernelILj32E17custom_notalignedEvPT0_j,"axG",@progbits,_Z17shuffle_up_kernelILj32E17custom_notalignedEvPT0_j,comdat
.Lfunc_end46:
	.size	_Z17shuffle_up_kernelILj32E17custom_notalignedEvPT0_j, .Lfunc_end46-_Z17shuffle_up_kernelILj32E17custom_notalignedEvPT0_j
                                        ; -- End function
	.section	.AMDGPU.csdata,"",@progbits
; Kernel info:
; codeLenInByte = 192
; NumSgprs: 11
; NumVgprs: 11
; NumAgprs: 0
; TotalNumVgprs: 11
; ScratchSize: 0
; MemoryBound: 0
; FloatMode: 240
; IeeeMode: 1
; LDSByteSize: 0 bytes/workgroup (compile time only)
; SGPRBlocks: 1
; VGPRBlocks: 1
; NumSGPRsForWavesPerEU: 11
; NumVGPRsForWavesPerEU: 11
; AccumOffset: 12
; Occupancy: 8
; WaveLimiterHint : 0
; COMPUTE_PGM_RSRC2:SCRATCH_EN: 0
; COMPUTE_PGM_RSRC2:USER_SGPR: 6
; COMPUTE_PGM_RSRC2:TRAP_HANDLER: 0
; COMPUTE_PGM_RSRC2:TGID_X_EN: 1
; COMPUTE_PGM_RSRC2:TGID_Y_EN: 0
; COMPUTE_PGM_RSRC2:TGID_Z_EN: 0
; COMPUTE_PGM_RSRC2:TIDIG_COMP_CNT: 0
; COMPUTE_PGM_RSRC3_GFX90A:ACCUM_OFFSET: 2
; COMPUTE_PGM_RSRC3_GFX90A:TG_SPLIT: 0
	.section	.text._Z17shuffle_up_kernelILj64E17custom_notalignedEvPT0_j,"axG",@progbits,_Z17shuffle_up_kernelILj64E17custom_notalignedEvPT0_j,comdat
	.protected	_Z17shuffle_up_kernelILj64E17custom_notalignedEvPT0_j ; -- Begin function _Z17shuffle_up_kernelILj64E17custom_notalignedEvPT0_j
	.globl	_Z17shuffle_up_kernelILj64E17custom_notalignedEvPT0_j
	.p2align	8
	.type	_Z17shuffle_up_kernelILj64E17custom_notalignedEvPT0_j,@function
_Z17shuffle_up_kernelILj64E17custom_notalignedEvPT0_j: ; @_Z17shuffle_up_kernelILj64E17custom_notalignedEvPT0_j
; %bb.0:
	s_load_dword s2, s[4:5], 0x1c
	s_load_dwordx2 s[0:1], s[4:5], 0x0
	s_load_dword s3, s[4:5], 0x8
	v_mbcnt_lo_u32_b32 v8, -1, 0
	v_mbcnt_hi_u32_b32 v8, -1, v8
	s_waitcnt lgkmcnt(0)
	s_and_b32 s2, s2, 0xffff
	s_mul_i32 s6, s6, s2
	v_add_u32_e32 v0, s6, v0
	v_mad_u64_u32 v[4:5], s[0:1], v0, 24, s[0:1]
	global_load_dwordx4 v[0:3], v[4:5], off
	global_load_dwordx2 v[6:7], v[4:5], off offset:16
	v_and_b32_e32 v9, 64, v8
	v_subrev_u32_e32 v10, s3, v8
	v_cmp_lt_i32_e32 vcc, v10, v9
	v_cndmask_b32_e32 v8, v10, v8, vcc
	v_lshlrev_b32_e32 v8, 2, v8
	s_waitcnt vmcnt(1)
	ds_bpermute_b32 v0, v8, v0
	ds_bpermute_b32 v1, v8, v1
	;; [unrolled: 1-line block ×4, first 2 shown]
	s_waitcnt vmcnt(0)
	ds_bpermute_b32 v6, v8, v6
	ds_bpermute_b32 v7, v8, v7
	s_waitcnt lgkmcnt(2)
	global_store_dwordx4 v[4:5], v[0:3], off
	s_waitcnt lgkmcnt(0)
	global_store_dwordx2 v[4:5], v[6:7], off offset:16
	s_endpgm
	.section	.rodata,"a",@progbits
	.p2align	6, 0x0
	.amdhsa_kernel _Z17shuffle_up_kernelILj64E17custom_notalignedEvPT0_j
		.amdhsa_group_segment_fixed_size 0
		.amdhsa_private_segment_fixed_size 0
		.amdhsa_kernarg_size 272
		.amdhsa_user_sgpr_count 6
		.amdhsa_user_sgpr_private_segment_buffer 1
		.amdhsa_user_sgpr_dispatch_ptr 0
		.amdhsa_user_sgpr_queue_ptr 0
		.amdhsa_user_sgpr_kernarg_segment_ptr 1
		.amdhsa_user_sgpr_dispatch_id 0
		.amdhsa_user_sgpr_flat_scratch_init 0
		.amdhsa_user_sgpr_kernarg_preload_length 0
		.amdhsa_user_sgpr_kernarg_preload_offset 0
		.amdhsa_user_sgpr_private_segment_size 0
		.amdhsa_uses_dynamic_stack 0
		.amdhsa_system_sgpr_private_segment_wavefront_offset 0
		.amdhsa_system_sgpr_workgroup_id_x 1
		.amdhsa_system_sgpr_workgroup_id_y 0
		.amdhsa_system_sgpr_workgroup_id_z 0
		.amdhsa_system_sgpr_workgroup_info 0
		.amdhsa_system_vgpr_workitem_id 0
		.amdhsa_next_free_vgpr 11
		.amdhsa_next_free_sgpr 7
		.amdhsa_accum_offset 12
		.amdhsa_reserve_vcc 1
		.amdhsa_reserve_flat_scratch 0
		.amdhsa_float_round_mode_32 0
		.amdhsa_float_round_mode_16_64 0
		.amdhsa_float_denorm_mode_32 3
		.amdhsa_float_denorm_mode_16_64 3
		.amdhsa_dx10_clamp 1
		.amdhsa_ieee_mode 1
		.amdhsa_fp16_overflow 0
		.amdhsa_tg_split 0
		.amdhsa_exception_fp_ieee_invalid_op 0
		.amdhsa_exception_fp_denorm_src 0
		.amdhsa_exception_fp_ieee_div_zero 0
		.amdhsa_exception_fp_ieee_overflow 0
		.amdhsa_exception_fp_ieee_underflow 0
		.amdhsa_exception_fp_ieee_inexact 0
		.amdhsa_exception_int_div_zero 0
	.end_amdhsa_kernel
	.section	.text._Z17shuffle_up_kernelILj64E17custom_notalignedEvPT0_j,"axG",@progbits,_Z17shuffle_up_kernelILj64E17custom_notalignedEvPT0_j,comdat
.Lfunc_end47:
	.size	_Z17shuffle_up_kernelILj64E17custom_notalignedEvPT0_j, .Lfunc_end47-_Z17shuffle_up_kernelILj64E17custom_notalignedEvPT0_j
                                        ; -- End function
	.section	.AMDGPU.csdata,"",@progbits
; Kernel info:
; codeLenInByte = 188
; NumSgprs: 11
; NumVgprs: 11
; NumAgprs: 0
; TotalNumVgprs: 11
; ScratchSize: 0
; MemoryBound: 0
; FloatMode: 240
; IeeeMode: 1
; LDSByteSize: 0 bytes/workgroup (compile time only)
; SGPRBlocks: 1
; VGPRBlocks: 1
; NumSGPRsForWavesPerEU: 11
; NumVGPRsForWavesPerEU: 11
; AccumOffset: 12
; Occupancy: 8
; WaveLimiterHint : 0
; COMPUTE_PGM_RSRC2:SCRATCH_EN: 0
; COMPUTE_PGM_RSRC2:USER_SGPR: 6
; COMPUTE_PGM_RSRC2:TRAP_HANDLER: 0
; COMPUTE_PGM_RSRC2:TGID_X_EN: 1
; COMPUTE_PGM_RSRC2:TGID_Y_EN: 0
; COMPUTE_PGM_RSRC2:TGID_Z_EN: 0
; COMPUTE_PGM_RSRC2:TIDIG_COMP_CNT: 0
; COMPUTE_PGM_RSRC3_GFX90A:ACCUM_OFFSET: 2
; COMPUTE_PGM_RSRC3_GFX90A:TG_SPLIT: 0
	.section	.text._Z17shuffle_up_kernelILj32E16custom_16alignedEvPT0_j,"axG",@progbits,_Z17shuffle_up_kernelILj32E16custom_16alignedEvPT0_j,comdat
	.protected	_Z17shuffle_up_kernelILj32E16custom_16alignedEvPT0_j ; -- Begin function _Z17shuffle_up_kernelILj32E16custom_16alignedEvPT0_j
	.globl	_Z17shuffle_up_kernelILj32E16custom_16alignedEvPT0_j
	.p2align	8
	.type	_Z17shuffle_up_kernelILj32E16custom_16alignedEvPT0_j,@function
_Z17shuffle_up_kernelILj32E16custom_16alignedEvPT0_j: ; @_Z17shuffle_up_kernelILj32E16custom_16alignedEvPT0_j
; %bb.0:
	s_load_dword s2, s[4:5], 0x1c
	s_load_dwordx2 s[0:1], s[4:5], 0x0
	s_load_dword s3, s[4:5], 0x8
	v_mov_b32_e32 v1, 0
	v_mbcnt_lo_u32_b32 v3, -1, 0
	s_waitcnt lgkmcnt(0)
	s_and_b32 s2, s2, 0xffff
	s_mul_i32 s6, s6, s2
	v_add_u32_e32 v0, s6, v0
	v_lshlrev_b64 v[0:1], 4, v[0:1]
	v_mov_b32_e32 v2, s1
	v_add_co_u32_e32 v4, vcc, s0, v0
	v_addc_co_u32_e32 v5, vcc, v2, v1, vcc
	global_load_dwordx3 v[0:2], v[4:5], off
	v_mbcnt_hi_u32_b32 v3, -1, v3
	v_and_b32_e32 v6, 0x60, v3
	v_subrev_u32_e32 v7, s3, v3
	v_cmp_lt_i32_e32 vcc, v7, v6
	v_cndmask_b32_e32 v3, v7, v3, vcc
	v_lshlrev_b32_e32 v3, 2, v3
	s_waitcnt vmcnt(0)
	ds_bpermute_b32 v0, v3, v0
	ds_bpermute_b32 v1, v3, v1
	;; [unrolled: 1-line block ×3, first 2 shown]
	s_waitcnt lgkmcnt(0)
	global_store_dwordx3 v[4:5], v[0:2], off
	s_endpgm
	.section	.rodata,"a",@progbits
	.p2align	6, 0x0
	.amdhsa_kernel _Z17shuffle_up_kernelILj32E16custom_16alignedEvPT0_j
		.amdhsa_group_segment_fixed_size 0
		.amdhsa_private_segment_fixed_size 0
		.amdhsa_kernarg_size 272
		.amdhsa_user_sgpr_count 6
		.amdhsa_user_sgpr_private_segment_buffer 1
		.amdhsa_user_sgpr_dispatch_ptr 0
		.amdhsa_user_sgpr_queue_ptr 0
		.amdhsa_user_sgpr_kernarg_segment_ptr 1
		.amdhsa_user_sgpr_dispatch_id 0
		.amdhsa_user_sgpr_flat_scratch_init 0
		.amdhsa_user_sgpr_kernarg_preload_length 0
		.amdhsa_user_sgpr_kernarg_preload_offset 0
		.amdhsa_user_sgpr_private_segment_size 0
		.amdhsa_uses_dynamic_stack 0
		.amdhsa_system_sgpr_private_segment_wavefront_offset 0
		.amdhsa_system_sgpr_workgroup_id_x 1
		.amdhsa_system_sgpr_workgroup_id_y 0
		.amdhsa_system_sgpr_workgroup_id_z 0
		.amdhsa_system_sgpr_workgroup_info 0
		.amdhsa_system_vgpr_workitem_id 0
		.amdhsa_next_free_vgpr 8
		.amdhsa_next_free_sgpr 7
		.amdhsa_accum_offset 8
		.amdhsa_reserve_vcc 1
		.amdhsa_reserve_flat_scratch 0
		.amdhsa_float_round_mode_32 0
		.amdhsa_float_round_mode_16_64 0
		.amdhsa_float_denorm_mode_32 3
		.amdhsa_float_denorm_mode_16_64 3
		.amdhsa_dx10_clamp 1
		.amdhsa_ieee_mode 1
		.amdhsa_fp16_overflow 0
		.amdhsa_tg_split 0
		.amdhsa_exception_fp_ieee_invalid_op 0
		.amdhsa_exception_fp_denorm_src 0
		.amdhsa_exception_fp_ieee_div_zero 0
		.amdhsa_exception_fp_ieee_overflow 0
		.amdhsa_exception_fp_ieee_underflow 0
		.amdhsa_exception_fp_ieee_inexact 0
		.amdhsa_exception_int_div_zero 0
	.end_amdhsa_kernel
	.section	.text._Z17shuffle_up_kernelILj32E16custom_16alignedEvPT0_j,"axG",@progbits,_Z17shuffle_up_kernelILj32E16custom_16alignedEvPT0_j,comdat
.Lfunc_end48:
	.size	_Z17shuffle_up_kernelILj32E16custom_16alignedEvPT0_j, .Lfunc_end48-_Z17shuffle_up_kernelILj32E16custom_16alignedEvPT0_j
                                        ; -- End function
	.section	.AMDGPU.csdata,"",@progbits
; Kernel info:
; codeLenInByte = 160
; NumSgprs: 11
; NumVgprs: 8
; NumAgprs: 0
; TotalNumVgprs: 8
; ScratchSize: 0
; MemoryBound: 0
; FloatMode: 240
; IeeeMode: 1
; LDSByteSize: 0 bytes/workgroup (compile time only)
; SGPRBlocks: 1
; VGPRBlocks: 0
; NumSGPRsForWavesPerEU: 11
; NumVGPRsForWavesPerEU: 8
; AccumOffset: 8
; Occupancy: 8
; WaveLimiterHint : 0
; COMPUTE_PGM_RSRC2:SCRATCH_EN: 0
; COMPUTE_PGM_RSRC2:USER_SGPR: 6
; COMPUTE_PGM_RSRC2:TRAP_HANDLER: 0
; COMPUTE_PGM_RSRC2:TGID_X_EN: 1
; COMPUTE_PGM_RSRC2:TGID_Y_EN: 0
; COMPUTE_PGM_RSRC2:TGID_Z_EN: 0
; COMPUTE_PGM_RSRC2:TIDIG_COMP_CNT: 0
; COMPUTE_PGM_RSRC3_GFX90A:ACCUM_OFFSET: 1
; COMPUTE_PGM_RSRC3_GFX90A:TG_SPLIT: 0
	.section	.text._Z17shuffle_up_kernelILj64E16custom_16alignedEvPT0_j,"axG",@progbits,_Z17shuffle_up_kernelILj64E16custom_16alignedEvPT0_j,comdat
	.protected	_Z17shuffle_up_kernelILj64E16custom_16alignedEvPT0_j ; -- Begin function _Z17shuffle_up_kernelILj64E16custom_16alignedEvPT0_j
	.globl	_Z17shuffle_up_kernelILj64E16custom_16alignedEvPT0_j
	.p2align	8
	.type	_Z17shuffle_up_kernelILj64E16custom_16alignedEvPT0_j,@function
_Z17shuffle_up_kernelILj64E16custom_16alignedEvPT0_j: ; @_Z17shuffle_up_kernelILj64E16custom_16alignedEvPT0_j
; %bb.0:
	s_load_dword s2, s[4:5], 0x1c
	s_load_dwordx2 s[0:1], s[4:5], 0x0
	s_load_dword s3, s[4:5], 0x8
	v_mov_b32_e32 v1, 0
	v_mbcnt_lo_u32_b32 v3, -1, 0
	s_waitcnt lgkmcnt(0)
	s_and_b32 s2, s2, 0xffff
	s_mul_i32 s6, s6, s2
	v_add_u32_e32 v0, s6, v0
	v_lshlrev_b64 v[0:1], 4, v[0:1]
	v_mov_b32_e32 v2, s1
	v_add_co_u32_e32 v4, vcc, s0, v0
	v_addc_co_u32_e32 v5, vcc, v2, v1, vcc
	global_load_dwordx3 v[0:2], v[4:5], off
	v_mbcnt_hi_u32_b32 v3, -1, v3
	v_and_b32_e32 v6, 64, v3
	v_subrev_u32_e32 v7, s3, v3
	v_cmp_lt_i32_e32 vcc, v7, v6
	v_cndmask_b32_e32 v3, v7, v3, vcc
	v_lshlrev_b32_e32 v3, 2, v3
	s_waitcnt vmcnt(0)
	ds_bpermute_b32 v0, v3, v0
	ds_bpermute_b32 v1, v3, v1
	ds_bpermute_b32 v2, v3, v2
	s_waitcnt lgkmcnt(0)
	global_store_dwordx3 v[4:5], v[0:2], off
	s_endpgm
	.section	.rodata,"a",@progbits
	.p2align	6, 0x0
	.amdhsa_kernel _Z17shuffle_up_kernelILj64E16custom_16alignedEvPT0_j
		.amdhsa_group_segment_fixed_size 0
		.amdhsa_private_segment_fixed_size 0
		.amdhsa_kernarg_size 272
		.amdhsa_user_sgpr_count 6
		.amdhsa_user_sgpr_private_segment_buffer 1
		.amdhsa_user_sgpr_dispatch_ptr 0
		.amdhsa_user_sgpr_queue_ptr 0
		.amdhsa_user_sgpr_kernarg_segment_ptr 1
		.amdhsa_user_sgpr_dispatch_id 0
		.amdhsa_user_sgpr_flat_scratch_init 0
		.amdhsa_user_sgpr_kernarg_preload_length 0
		.amdhsa_user_sgpr_kernarg_preload_offset 0
		.amdhsa_user_sgpr_private_segment_size 0
		.amdhsa_uses_dynamic_stack 0
		.amdhsa_system_sgpr_private_segment_wavefront_offset 0
		.amdhsa_system_sgpr_workgroup_id_x 1
		.amdhsa_system_sgpr_workgroup_id_y 0
		.amdhsa_system_sgpr_workgroup_id_z 0
		.amdhsa_system_sgpr_workgroup_info 0
		.amdhsa_system_vgpr_workitem_id 0
		.amdhsa_next_free_vgpr 8
		.amdhsa_next_free_sgpr 7
		.amdhsa_accum_offset 8
		.amdhsa_reserve_vcc 1
		.amdhsa_reserve_flat_scratch 0
		.amdhsa_float_round_mode_32 0
		.amdhsa_float_round_mode_16_64 0
		.amdhsa_float_denorm_mode_32 3
		.amdhsa_float_denorm_mode_16_64 3
		.amdhsa_dx10_clamp 1
		.amdhsa_ieee_mode 1
		.amdhsa_fp16_overflow 0
		.amdhsa_tg_split 0
		.amdhsa_exception_fp_ieee_invalid_op 0
		.amdhsa_exception_fp_denorm_src 0
		.amdhsa_exception_fp_ieee_div_zero 0
		.amdhsa_exception_fp_ieee_overflow 0
		.amdhsa_exception_fp_ieee_underflow 0
		.amdhsa_exception_fp_ieee_inexact 0
		.amdhsa_exception_int_div_zero 0
	.end_amdhsa_kernel
	.section	.text._Z17shuffle_up_kernelILj64E16custom_16alignedEvPT0_j,"axG",@progbits,_Z17shuffle_up_kernelILj64E16custom_16alignedEvPT0_j,comdat
.Lfunc_end49:
	.size	_Z17shuffle_up_kernelILj64E16custom_16alignedEvPT0_j, .Lfunc_end49-_Z17shuffle_up_kernelILj64E16custom_16alignedEvPT0_j
                                        ; -- End function
	.section	.AMDGPU.csdata,"",@progbits
; Kernel info:
; codeLenInByte = 156
; NumSgprs: 11
; NumVgprs: 8
; NumAgprs: 0
; TotalNumVgprs: 8
; ScratchSize: 0
; MemoryBound: 0
; FloatMode: 240
; IeeeMode: 1
; LDSByteSize: 0 bytes/workgroup (compile time only)
; SGPRBlocks: 1
; VGPRBlocks: 0
; NumSGPRsForWavesPerEU: 11
; NumVGPRsForWavesPerEU: 8
; AccumOffset: 8
; Occupancy: 8
; WaveLimiterHint : 0
; COMPUTE_PGM_RSRC2:SCRATCH_EN: 0
; COMPUTE_PGM_RSRC2:USER_SGPR: 6
; COMPUTE_PGM_RSRC2:TRAP_HANDLER: 0
; COMPUTE_PGM_RSRC2:TGID_X_EN: 1
; COMPUTE_PGM_RSRC2:TGID_Y_EN: 0
; COMPUTE_PGM_RSRC2:TGID_Z_EN: 0
; COMPUTE_PGM_RSRC2:TIDIG_COMP_CNT: 0
; COMPUTE_PGM_RSRC3_GFX90A:ACCUM_OFFSET: 1
; COMPUTE_PGM_RSRC3_GFX90A:TG_SPLIT: 0
	.section	.text._Z21device_test_warp_maskILj1EEvP10TestStatus,"axG",@progbits,_Z21device_test_warp_maskILj1EEvP10TestStatus,comdat
	.protected	_Z21device_test_warp_maskILj1EEvP10TestStatus ; -- Begin function _Z21device_test_warp_maskILj1EEvP10TestStatus
	.globl	_Z21device_test_warp_maskILj1EEvP10TestStatus
	.p2align	8
	.type	_Z21device_test_warp_maskILj1EEvP10TestStatus,@function
_Z21device_test_warp_maskILj1EEvP10TestStatus: ; @_Z21device_test_warp_maskILj1EEvP10TestStatus
; %bb.0:
	v_mbcnt_lo_u32_b32 v1, -1, 0
	v_mbcnt_hi_u32_b32 v1, -1, v1
	v_lshlrev_b64 v[2:3], v1, 1
	v_cmp_ne_u32_e32 vcc, 0, v1
	s_mov_b64 s[2:3], -1
                                        ; implicit-def: $sgpr8
	s_and_saveexec_b64 s[0:1], vcc
	s_cbranch_execnz .LBB50_3
; %bb.1:
	s_or_b64 exec, exec, s[0:1]
	v_mov_b32_e32 v4, s8
	s_and_saveexec_b64 s[6:7], s[2:3]
	s_cbranch_execnz .LBB50_8
.LBB50_2:
	s_or_b64 exec, exec, s[6:7]
	s_load_dwordx2 s[0:1], s[4:5], 0x0
	s_waitcnt lgkmcnt(0)
	global_store_byte v0, v4, s[0:1]
	s_endpgm
.LBB50_3:
	s_mov_b64 s[2:3], 0
	v_mov_b32_e32 v5, 0
	s_mov_b64 s[12:13], 0
                                        ; implicit-def: $sgpr6_sgpr7
                                        ; implicit-def: $sgpr10_sgpr11
                                        ; implicit-def: $sgpr8_sgpr9
	s_branch .LBB50_5
.LBB50_4:                               ;   in Loop: Header=BB50_5 Depth=1
	s_or_b64 exec, exec, s[14:15]
	s_xor_b64 s[14:15], s[8:9], -1
	s_and_b64 s[16:17], exec, s[10:11]
	s_or_b64 s[2:3], s[16:17], s[2:3]
	s_andn2_b64 s[6:7], s[6:7], exec
	s_and_b64 s[14:15], s[14:15], exec
	s_or_b64 s[6:7], s[6:7], s[14:15]
	s_andn2_b64 exec, exec, s[2:3]
	s_cbranch_execz .LBB50_7
.LBB50_5:                               ; =>This Inner Loop Header: Depth=1
	v_lshrrev_b64 v[6:7], s12, v[2:3]
	v_and_b32_e32 v4, 1, v6
	v_cmp_eq_u64_e32 vcc, 0, v[4:5]
	s_or_b64 s[8:9], s[8:9], exec
	s_or_b64 s[10:11], s[10:11], exec
	s_and_saveexec_b64 s[14:15], vcc
	s_cbranch_execz .LBB50_4
; %bb.6:                                ;   in Loop: Header=BB50_5 Depth=1
	s_add_u32 s12, s12, 1
	v_cmp_eq_u32_e32 vcc, s12, v1
	s_addc_u32 s13, s13, 0
	s_andn2_b64 s[10:11], s[10:11], exec
	s_and_b64 s[16:17], vcc, exec
	s_andn2_b64 s[8:9], s[8:9], exec
	s_or_b64 s[10:11], s[10:11], s[16:17]
	s_branch .LBB50_4
.LBB50_7:
	s_or_b64 exec, exec, s[2:3]
	s_mov_b32 s8, 0
	s_orn2_b64 s[2:3], s[6:7], exec
	s_or_b64 exec, exec, s[0:1]
	v_mov_b32_e32 v4, s8
	s_and_saveexec_b64 s[6:7], s[2:3]
	s_cbranch_execz .LBB50_2
.LBB50_8:
	v_add_u32_e32 v4, 1, v1
	v_cmp_gt_u32_e32 vcc, 64, v4
	s_mov_b64 s[0:1], -1
	s_and_saveexec_b64 s[8:9], vcc
	s_cbranch_execz .LBB50_12
; %bb.9:
	v_mov_b32_e32 v1, 0
	s_mov_b64 s[10:11], 0
                                        ; implicit-def: $sgpr12_sgpr13
.LBB50_10:                              ; =>This Inner Loop Header: Depth=1
	v_lshlrev_b64 v[6:7], v4, 1
	v_and_b32_e32 v7, v7, v3
	v_and_b32_e32 v6, v6, v2
	v_cmp_lt_u32_e32 vcc, 62, v4
	v_cmp_ne_u64_e64 s[2:3], 0, v[6:7]
	v_add_co_u32_e64 v4, s[0:1], 1, v4
	s_or_b64 s[2:3], vcc, s[2:3]
	v_addc_co_u32_e64 v1, s[0:1], 0, v1, s[0:1]
	s_and_b64 s[2:3], exec, s[2:3]
	v_cmp_eq_u64_e64 s[0:1], 0, v[6:7]
	s_or_b64 s[10:11], s[2:3], s[10:11]
	s_andn2_b64 s[2:3], s[12:13], exec
	s_and_b64 s[0:1], s[0:1], exec
	s_or_b64 s[12:13], s[2:3], s[0:1]
	s_andn2_b64 exec, exec, s[10:11]
	s_cbranch_execnz .LBB50_10
; %bb.11:
	s_or_b64 exec, exec, s[10:11]
	s_orn2_b64 s[0:1], s[12:13], exec
.LBB50_12:
	s_or_b64 exec, exec, s[8:9]
	v_cndmask_b32_e64 v4, 0, 1, s[0:1]
	s_or_b64 exec, exec, s[6:7]
	s_load_dwordx2 s[0:1], s[4:5], 0x0
	s_waitcnt lgkmcnt(0)
	global_store_byte v0, v4, s[0:1]
	s_endpgm
	.section	.rodata,"a",@progbits
	.p2align	6, 0x0
	.amdhsa_kernel _Z21device_test_warp_maskILj1EEvP10TestStatus
		.amdhsa_group_segment_fixed_size 0
		.amdhsa_private_segment_fixed_size 0
		.amdhsa_kernarg_size 8
		.amdhsa_user_sgpr_count 6
		.amdhsa_user_sgpr_private_segment_buffer 1
		.amdhsa_user_sgpr_dispatch_ptr 0
		.amdhsa_user_sgpr_queue_ptr 0
		.amdhsa_user_sgpr_kernarg_segment_ptr 1
		.amdhsa_user_sgpr_dispatch_id 0
		.amdhsa_user_sgpr_flat_scratch_init 0
		.amdhsa_user_sgpr_kernarg_preload_length 0
		.amdhsa_user_sgpr_kernarg_preload_offset 0
		.amdhsa_user_sgpr_private_segment_size 0
		.amdhsa_uses_dynamic_stack 0
		.amdhsa_system_sgpr_private_segment_wavefront_offset 0
		.amdhsa_system_sgpr_workgroup_id_x 1
		.amdhsa_system_sgpr_workgroup_id_y 0
		.amdhsa_system_sgpr_workgroup_id_z 0
		.amdhsa_system_sgpr_workgroup_info 0
		.amdhsa_system_vgpr_workitem_id 0
		.amdhsa_next_free_vgpr 8
		.amdhsa_next_free_sgpr 18
		.amdhsa_accum_offset 8
		.amdhsa_reserve_vcc 1
		.amdhsa_reserve_flat_scratch 0
		.amdhsa_float_round_mode_32 0
		.amdhsa_float_round_mode_16_64 0
		.amdhsa_float_denorm_mode_32 3
		.amdhsa_float_denorm_mode_16_64 3
		.amdhsa_dx10_clamp 1
		.amdhsa_ieee_mode 1
		.amdhsa_fp16_overflow 0
		.amdhsa_tg_split 0
		.amdhsa_exception_fp_ieee_invalid_op 0
		.amdhsa_exception_fp_denorm_src 0
		.amdhsa_exception_fp_ieee_div_zero 0
		.amdhsa_exception_fp_ieee_overflow 0
		.amdhsa_exception_fp_ieee_underflow 0
		.amdhsa_exception_fp_ieee_inexact 0
		.amdhsa_exception_int_div_zero 0
	.end_amdhsa_kernel
	.section	.text._Z21device_test_warp_maskILj1EEvP10TestStatus,"axG",@progbits,_Z21device_test_warp_maskILj1EEvP10TestStatus,comdat
.Lfunc_end50:
	.size	_Z21device_test_warp_maskILj1EEvP10TestStatus, .Lfunc_end50-_Z21device_test_warp_maskILj1EEvP10TestStatus
                                        ; -- End function
	.section	.AMDGPU.csdata,"",@progbits
; Kernel info:
; codeLenInByte = 388
; NumSgprs: 22
; NumVgprs: 8
; NumAgprs: 0
; TotalNumVgprs: 8
; ScratchSize: 0
; MemoryBound: 0
; FloatMode: 240
; IeeeMode: 1
; LDSByteSize: 0 bytes/workgroup (compile time only)
; SGPRBlocks: 2
; VGPRBlocks: 0
; NumSGPRsForWavesPerEU: 22
; NumVGPRsForWavesPerEU: 8
; AccumOffset: 8
; Occupancy: 8
; WaveLimiterHint : 0
; COMPUTE_PGM_RSRC2:SCRATCH_EN: 0
; COMPUTE_PGM_RSRC2:USER_SGPR: 6
; COMPUTE_PGM_RSRC2:TRAP_HANDLER: 0
; COMPUTE_PGM_RSRC2:TGID_X_EN: 1
; COMPUTE_PGM_RSRC2:TGID_Y_EN: 0
; COMPUTE_PGM_RSRC2:TGID_Z_EN: 0
; COMPUTE_PGM_RSRC2:TIDIG_COMP_CNT: 0
; COMPUTE_PGM_RSRC3_GFX90A:ACCUM_OFFSET: 1
; COMPUTE_PGM_RSRC3_GFX90A:TG_SPLIT: 0
	.section	.text._Z21device_test_warp_maskILj2EEvP10TestStatus,"axG",@progbits,_Z21device_test_warp_maskILj2EEvP10TestStatus,comdat
	.protected	_Z21device_test_warp_maskILj2EEvP10TestStatus ; -- Begin function _Z21device_test_warp_maskILj2EEvP10TestStatus
	.globl	_Z21device_test_warp_maskILj2EEvP10TestStatus
	.p2align	8
	.type	_Z21device_test_warp_maskILj2EEvP10TestStatus,@function
_Z21device_test_warp_maskILj2EEvP10TestStatus: ; @_Z21device_test_warp_maskILj2EEvP10TestStatus
; %bb.0:
	v_mbcnt_lo_u32_b32 v1, -1, 0
	v_mbcnt_hi_u32_b32 v1, -1, v1
	v_and_b32_e32 v4, 0x7e, v1
	v_lshlrev_b64 v[2:3], v4, 3
	v_cmp_ne_u32_e32 vcc, 0, v4
	s_mov_b64 s[2:3], -1
                                        ; implicit-def: $sgpr8
	s_and_saveexec_b64 s[0:1], vcc
	s_cbranch_execnz .LBB51_3
; %bb.1:
	s_or_b64 exec, exec, s[0:1]
	v_mov_b32_e32 v5, s8
	s_and_saveexec_b64 s[6:7], s[2:3]
	s_cbranch_execnz .LBB51_8
.LBB51_2:
	s_or_b64 exec, exec, s[6:7]
	s_load_dwordx2 s[0:1], s[4:5], 0x0
	s_waitcnt lgkmcnt(0)
	global_store_byte v0, v5, s[0:1]
	s_endpgm
.LBB51_3:
	v_mov_b32_e32 v7, 0
	s_mov_b64 s[2:3], 0
	s_mov_b64 s[12:13], 0
                                        ; implicit-def: $sgpr6_sgpr7
                                        ; implicit-def: $sgpr10_sgpr11
                                        ; implicit-def: $sgpr8_sgpr9
	s_branch .LBB51_5
.LBB51_4:                               ;   in Loop: Header=BB51_5 Depth=1
	s_or_b64 exec, exec, s[14:15]
	s_xor_b64 s[14:15], s[8:9], -1
	s_and_b64 s[16:17], exec, s[10:11]
	s_or_b64 s[2:3], s[16:17], s[2:3]
	s_andn2_b64 s[6:7], s[6:7], exec
	s_and_b64 s[14:15], s[14:15], exec
	s_or_b64 s[6:7], s[6:7], s[14:15]
	s_andn2_b64 exec, exec, s[2:3]
	s_cbranch_execz .LBB51_7
.LBB51_5:                               ; =>This Inner Loop Header: Depth=1
	v_lshrrev_b64 v[8:9], s12, v[2:3]
	v_and_b32_e32 v6, 1, v8
	v_cmp_eq_u64_e32 vcc, 0, v[6:7]
	s_or_b64 s[8:9], s[8:9], exec
	s_or_b64 s[10:11], s[10:11], exec
	s_and_saveexec_b64 s[14:15], vcc
	s_cbranch_execz .LBB51_4
; %bb.6:                                ;   in Loop: Header=BB51_5 Depth=1
	s_add_u32 s12, s12, 1
	v_cmp_eq_u32_e32 vcc, s12, v4
	s_addc_u32 s13, s13, 0
	s_andn2_b64 s[10:11], s[10:11], exec
	s_and_b64 s[16:17], vcc, exec
	s_andn2_b64 s[8:9], s[8:9], exec
	s_or_b64 s[10:11], s[10:11], s[16:17]
	s_branch .LBB51_4
.LBB51_7:
	s_or_b64 exec, exec, s[2:3]
	s_mov_b32 s8, 0
	s_orn2_b64 s[2:3], s[6:7], exec
	s_or_b64 exec, exec, s[0:1]
	v_mov_b32_e32 v5, s8
	s_and_saveexec_b64 s[6:7], s[2:3]
	s_cbranch_execz .LBB51_2
.LBB51_8:
	v_cmp_lt_u32_e64 s[0:1], -3, v1
	v_cmp_gt_u32_e32 vcc, -2, v1
                                        ; implicit-def: $sgpr8
	s_and_saveexec_b64 s[2:3], vcc
; %bb.9:
	v_or_b32_e32 v1, 1, v1
	v_lshrrev_b64 v[6:7], v1, v[2:3]
	v_and_b32_e32 v1, 1, v6
	v_cmp_eq_u32_e32 vcc, 1, v1
	s_andn2_b64 s[0:1], s[0:1], exec
	s_and_b64 s[10:11], vcc, exec
	s_mov_b32 s8, 0
	s_or_b64 s[0:1], s[0:1], s[10:11]
; %bb.10:
	s_or_b64 exec, exec, s[2:3]
	v_mov_b32_e32 v5, s8
	s_and_saveexec_b64 s[8:9], s[0:1]
	s_cbranch_execz .LBB51_16
; %bb.11:
	v_add_u32_e32 v4, 2, v4
	v_cmp_gt_u32_e32 vcc, 64, v4
	s_mov_b64 s[0:1], -1
	s_and_saveexec_b64 s[10:11], vcc
	s_cbranch_execz .LBB51_15
; %bb.12:
	v_mov_b32_e32 v1, 0
	s_mov_b64 s[12:13], 0
                                        ; implicit-def: $sgpr14_sgpr15
.LBB51_13:                              ; =>This Inner Loop Header: Depth=1
	v_lshlrev_b64 v[6:7], v4, 1
	v_and_b32_e32 v7, v7, v3
	v_and_b32_e32 v6, v6, v2
	v_cmp_lt_u32_e32 vcc, 62, v4
	v_cmp_ne_u64_e64 s[2:3], 0, v[6:7]
	v_add_co_u32_e64 v4, s[0:1], 1, v4
	s_or_b64 s[2:3], vcc, s[2:3]
	v_addc_co_u32_e64 v1, s[0:1], 0, v1, s[0:1]
	s_and_b64 s[2:3], exec, s[2:3]
	v_cmp_eq_u64_e64 s[0:1], 0, v[6:7]
	s_or_b64 s[12:13], s[2:3], s[12:13]
	s_andn2_b64 s[2:3], s[14:15], exec
	s_and_b64 s[0:1], s[0:1], exec
	s_or_b64 s[14:15], s[2:3], s[0:1]
	s_andn2_b64 exec, exec, s[12:13]
	s_cbranch_execnz .LBB51_13
; %bb.14:
	s_or_b64 exec, exec, s[12:13]
	s_orn2_b64 s[0:1], s[14:15], exec
.LBB51_15:
	s_or_b64 exec, exec, s[10:11]
	v_cndmask_b32_e64 v5, 0, 1, s[0:1]
.LBB51_16:
	s_or_b64 exec, exec, s[8:9]
	s_or_b64 exec, exec, s[6:7]
	s_load_dwordx2 s[0:1], s[4:5], 0x0
	s_waitcnt lgkmcnt(0)
	global_store_byte v0, v5, s[0:1]
	s_endpgm
	.section	.rodata,"a",@progbits
	.p2align	6, 0x0
	.amdhsa_kernel _Z21device_test_warp_maskILj2EEvP10TestStatus
		.amdhsa_group_segment_fixed_size 0
		.amdhsa_private_segment_fixed_size 0
		.amdhsa_kernarg_size 8
		.amdhsa_user_sgpr_count 6
		.amdhsa_user_sgpr_private_segment_buffer 1
		.amdhsa_user_sgpr_dispatch_ptr 0
		.amdhsa_user_sgpr_queue_ptr 0
		.amdhsa_user_sgpr_kernarg_segment_ptr 1
		.amdhsa_user_sgpr_dispatch_id 0
		.amdhsa_user_sgpr_flat_scratch_init 0
		.amdhsa_user_sgpr_kernarg_preload_length 0
		.amdhsa_user_sgpr_kernarg_preload_offset 0
		.amdhsa_user_sgpr_private_segment_size 0
		.amdhsa_uses_dynamic_stack 0
		.amdhsa_system_sgpr_private_segment_wavefront_offset 0
		.amdhsa_system_sgpr_workgroup_id_x 1
		.amdhsa_system_sgpr_workgroup_id_y 0
		.amdhsa_system_sgpr_workgroup_id_z 0
		.amdhsa_system_sgpr_workgroup_info 0
		.amdhsa_system_vgpr_workitem_id 0
		.amdhsa_next_free_vgpr 10
		.amdhsa_next_free_sgpr 18
		.amdhsa_accum_offset 12
		.amdhsa_reserve_vcc 1
		.amdhsa_reserve_flat_scratch 0
		.amdhsa_float_round_mode_32 0
		.amdhsa_float_round_mode_16_64 0
		.amdhsa_float_denorm_mode_32 3
		.amdhsa_float_denorm_mode_16_64 3
		.amdhsa_dx10_clamp 1
		.amdhsa_ieee_mode 1
		.amdhsa_fp16_overflow 0
		.amdhsa_tg_split 0
		.amdhsa_exception_fp_ieee_invalid_op 0
		.amdhsa_exception_fp_denorm_src 0
		.amdhsa_exception_fp_ieee_div_zero 0
		.amdhsa_exception_fp_ieee_overflow 0
		.amdhsa_exception_fp_ieee_underflow 0
		.amdhsa_exception_fp_ieee_inexact 0
		.amdhsa_exception_int_div_zero 0
	.end_amdhsa_kernel
	.section	.text._Z21device_test_warp_maskILj2EEvP10TestStatus,"axG",@progbits,_Z21device_test_warp_maskILj2EEvP10TestStatus,comdat
.Lfunc_end51:
	.size	_Z21device_test_warp_maskILj2EEvP10TestStatus, .Lfunc_end51-_Z21device_test_warp_maskILj2EEvP10TestStatus
                                        ; -- End function
	.section	.AMDGPU.csdata,"",@progbits
; Kernel info:
; codeLenInByte = 468
; NumSgprs: 22
; NumVgprs: 10
; NumAgprs: 0
; TotalNumVgprs: 10
; ScratchSize: 0
; MemoryBound: 0
; FloatMode: 240
; IeeeMode: 1
; LDSByteSize: 0 bytes/workgroup (compile time only)
; SGPRBlocks: 2
; VGPRBlocks: 1
; NumSGPRsForWavesPerEU: 22
; NumVGPRsForWavesPerEU: 10
; AccumOffset: 12
; Occupancy: 8
; WaveLimiterHint : 0
; COMPUTE_PGM_RSRC2:SCRATCH_EN: 0
; COMPUTE_PGM_RSRC2:USER_SGPR: 6
; COMPUTE_PGM_RSRC2:TRAP_HANDLER: 0
; COMPUTE_PGM_RSRC2:TGID_X_EN: 1
; COMPUTE_PGM_RSRC2:TGID_Y_EN: 0
; COMPUTE_PGM_RSRC2:TGID_Z_EN: 0
; COMPUTE_PGM_RSRC2:TIDIG_COMP_CNT: 0
; COMPUTE_PGM_RSRC3_GFX90A:ACCUM_OFFSET: 2
; COMPUTE_PGM_RSRC3_GFX90A:TG_SPLIT: 0
	.section	.text._Z21device_test_warp_maskILj3EEvP10TestStatus,"axG",@progbits,_Z21device_test_warp_maskILj3EEvP10TestStatus,comdat
	.protected	_Z21device_test_warp_maskILj3EEvP10TestStatus ; -- Begin function _Z21device_test_warp_maskILj3EEvP10TestStatus
	.globl	_Z21device_test_warp_maskILj3EEvP10TestStatus
	.p2align	8
	.type	_Z21device_test_warp_maskILj3EEvP10TestStatus,@function
_Z21device_test_warp_maskILj3EEvP10TestStatus: ; @_Z21device_test_warp_maskILj3EEvP10TestStatus
; %bb.0:
	s_mov_b32 s38, 3
	s_mov_b64 s[20:21], 11
	s_mov_b32 s11, 0
	s_branch .LBB52_3
.LBB52_1:                               ;   in Loop: Header=BB52_3 Depth=1
	s_add_i32 s39, s38, 4
	s_mov_b64 s[26:27], -1
                                        ; implicit-def: $sgpr38
                                        ; implicit-def: $sgpr20_sgpr21
                                        ; implicit-def: $sgpr12_sgpr13
                                        ; implicit-def: $sgpr24_sgpr25
.LBB52_2:                               ;   in Loop: Header=BB52_3 Depth=1
	s_and_b64 vcc, exec, s[36:37]
	s_cbranch_vccnz .LBB52_14
.LBB52_3:                               ; =>This Inner Loop Header: Depth=1
	s_mov_b64 s[0:1], s[20:21]
	s_add_u32 s33, s0, -7
	s_lshl_b64 s[2:3], 1, s33
	s_and_b32 s10, s2, 6
	s_mov_b64 s[14:15], -1
	s_cmp_lg_u64 s[10:11], 0
	s_mov_b64 s[30:31], 0
	s_mov_b64 s[34:35], 0
	;; [unrolled: 1-line block ×7, first 2 shown]
	s_mov_b64 s[36:37], -1
                                        ; implicit-def: $sgpr20_sgpr21
                                        ; implicit-def: $sgpr39
                                        ; implicit-def: $sgpr2_sgpr3
                                        ; implicit-def: $sgpr6_sgpr7
                                        ; implicit-def: $sgpr8_sgpr9
                                        ; implicit-def: $sgpr12_sgpr13
                                        ; implicit-def: $sgpr24_sgpr25
	s_cbranch_scc1 .LBB52_2
; %bb.4:                                ;   in Loop: Header=BB52_3 Depth=1
	s_add_u32 s2, s0, -6
	s_lshl_b64 s[6:7], 1, s2
	s_and_b32 s10, s6, 6
	s_mov_b64 s[16:17], -1
	s_mov_b64 s[14:15], 0
	s_cmp_eq_u64 s[10:11], 0
                                        ; implicit-def: $sgpr20_sgpr21
                                        ; implicit-def: $sgpr39
                                        ; implicit-def: $sgpr6_sgpr7
                                        ; implicit-def: $sgpr8_sgpr9
                                        ; implicit-def: $sgpr12_sgpr13
                                        ; implicit-def: $sgpr24_sgpr25
	s_cbranch_scc0 .LBB52_2
; %bb.5:                                ;   in Loop: Header=BB52_3 Depth=1
	s_add_u32 s6, s0, -5
	s_lshl_b64 s[8:9], 1, s6
	s_and_b32 s10, s8, 6
	s_mov_b64 s[18:19], -1
	s_mov_b64 s[16:17], 0
	s_cmp_eq_u64 s[10:11], 0
                                        ; implicit-def: $sgpr20_sgpr21
                                        ; implicit-def: $sgpr39
                                        ; implicit-def: $sgpr8_sgpr9
                                        ; implicit-def: $sgpr12_sgpr13
                                        ; implicit-def: $sgpr24_sgpr25
	s_cbranch_scc0 .LBB52_2
; %bb.6:                                ;   in Loop: Header=BB52_3 Depth=1
	s_add_u32 s8, s0, -4
	s_lshl_b64 s[12:13], 1, s8
	s_and_b32 s10, s12, 6
	s_mov_b64 s[22:23], -1
	s_mov_b64 s[18:19], 0
	s_cmp_eq_u64 s[10:11], 0
                                        ; implicit-def: $sgpr20_sgpr21
                                        ; implicit-def: $sgpr39
                                        ; implicit-def: $sgpr12_sgpr13
                                        ; implicit-def: $sgpr24_sgpr25
	s_cbranch_scc0 .LBB52_2
; %bb.7:                                ;   in Loop: Header=BB52_3 Depth=1
	s_cmpk_lg_i32 s0, 0x43
	s_mov_b64 s[22:23], 0
	s_cbranch_scc0 .LBB52_1
; %bb.8:                                ;   in Loop: Header=BB52_3 Depth=1
	s_add_u32 s12, s0, -3
	s_lshl_b64 s[20:21], 1, s12
	s_and_b32 s10, s20, 6
	s_mov_b64 s[28:29], -1
	s_cmp_eq_u64 s[10:11], 0
                                        ; implicit-def: $sgpr20_sgpr21
                                        ; implicit-def: $sgpr24_sgpr25
	s_cbranch_scc0 .LBB52_10
; %bb.9:                                ;   in Loop: Header=BB52_3 Depth=1
	s_add_u32 s24, s0, -2
	s_lshl_b64 s[20:21], 1, s24
	s_and_b32 s10, s20, 6
	s_mov_b64 s[34:35], -1
	s_mov_b64 s[28:29], 0
	s_cmp_eq_u64 s[10:11], 0
                                        ; implicit-def: $sgpr20_sgpr21
	s_cbranch_scc1 .LBB52_11
.LBB52_10:                              ;   in Loop: Header=BB52_3 Depth=1
                                        ; implicit-def: $sgpr39
	s_branch .LBB52_2
.LBB52_11:                              ;   in Loop: Header=BB52_3 Depth=1
	s_add_i32 s3, s0, -1
	s_lshl_b64 s[20:21], 1, s3
	s_and_b32 s10, s20, 6
	s_mov_b64 s[30:31], -1
	s_cmp_eq_u64 s[10:11], 0
                                        ; implicit-def: $sgpr20_sgpr21
	s_cbranch_scc1 .LBB52_13
; %bb.12:                               ;   in Loop: Header=BB52_3 Depth=1
	s_mov_b64 s[34:35], 0
                                        ; implicit-def: $sgpr39
	s_branch .LBB52_2
.LBB52_13:                              ;   in Loop: Header=BB52_3 Depth=1
	s_lshl_b64 s[20:21], 1, s0
	s_add_i32 s38, s38, 8
	s_and_b32 s10, s20, 6
	s_cmp_lg_u64 s[10:11], 0
	s_cselect_b64 s[36:37], -1, 0
	s_add_u32 s20, s0, 8
	s_addc_u32 s21, s1, 0
	s_mov_b64 s[30:31], 0
	s_mov_b64 s[34:35], 0
                                        ; implicit-def: $sgpr39
	s_branch .LBB52_2
.LBB52_14:
	s_mov_b64 s[10:11], -1
	s_and_b64 vcc, exec, s[14:15]
	s_cbranch_vccnz .LBB52_44
; %bb.15:
	s_xor_b64 s[10:11], s[16:17], -1
	s_andn2_b64 vcc, exec, s[10:11]
	s_cbranch_vccnz .LBB52_23
; %bb.16:
	s_xor_b64 s[10:11], s[18:19], -1
	s_andn2_b64 vcc, exec, s[10:11]
	;; [unrolled: 4-line block ×6, first 2 shown]
	s_cbranch_vccnz .LBB52_27
; %bb.21:
	s_xor_b64 s[10:11], s[30:31], -1
	s_and_b64 vcc, exec, s[10:11]
	s_cbranch_vccz .LBB52_28
; %bb.22:
	s_add_i32 s39, s20, -9
	s_mov_b64 s[10:11], 0
	s_branch .LBB52_29
.LBB52_23:
                                        ; implicit-def: $sgpr39
	s_branch .LBB52_42
.LBB52_24:
                                        ; implicit-def: $sgpr39
	s_branch .LBB52_40
.LBB52_25:
                                        ; implicit-def: $sgpr39
	s_branch .LBB52_38
.LBB52_26:
	s_mov_b64 s[10:11], -1
                                        ; implicit-def: $sgpr39
	s_branch .LBB52_35
.LBB52_27:
	s_mov_b64 s[10:11], -1
                                        ; implicit-def: $sgpr39
	s_branch .LBB52_32
.LBB52_28:
	s_mov_b64 s[10:11], -1
                                        ; implicit-def: $sgpr39
.LBB52_29:
	s_andn2_b64 vcc, exec, s[10:11]
	s_cbranch_vccnz .LBB52_31
; %bb.30:
	s_mov_b32 s39, s24
.LBB52_31:
	s_mov_b64 s[10:11], 0
.LBB52_32:
	s_andn2_b64 vcc, exec, s[10:11]
	s_cbranch_vccnz .LBB52_34
; %bb.33:
	s_mov_b32 s39, s12
.LBB52_34:
	s_mov_b64 s[10:11], 0
.LBB52_35:
	s_andn2_b64 vcc, exec, s[10:11]
	s_cbranch_vccnz .LBB52_37
; %bb.36:
	s_mov_b32 s39, s8
.LBB52_37:
	s_cbranch_execnz .LBB52_39
.LBB52_38:
	s_mov_b32 s39, s6
.LBB52_39:
	s_cbranch_execnz .LBB52_41
.LBB52_40:
	s_mov_b32 s39, s2
.LBB52_41:
	s_cbranch_execnz .LBB52_43
.LBB52_42:
	s_mov_b32 s39, s33
.LBB52_43:
	s_mov_b64 s[10:11], 0
.LBB52_44:
	s_andn2_b64 vcc, exec, s[10:11]
	s_cbranch_vccnz .LBB52_46
; %bb.45:
	s_add_i32 s39, s0, -8
.LBB52_46:
	s_load_dwordx2 s[0:1], s[4:5], 0x0
	s_cmp_gt_u32 s39, 62
	s_cselect_b64 s[2:3], -1, 0
	v_cndmask_b32_e64 v1, 0, 1, s[2:3]
	s_waitcnt lgkmcnt(0)
	global_store_byte v0, v1, s[0:1]
	s_endpgm
	.section	.rodata,"a",@progbits
	.p2align	6, 0x0
	.amdhsa_kernel _Z21device_test_warp_maskILj3EEvP10TestStatus
		.amdhsa_group_segment_fixed_size 0
		.amdhsa_private_segment_fixed_size 0
		.amdhsa_kernarg_size 8
		.amdhsa_user_sgpr_count 6
		.amdhsa_user_sgpr_private_segment_buffer 1
		.amdhsa_user_sgpr_dispatch_ptr 0
		.amdhsa_user_sgpr_queue_ptr 0
		.amdhsa_user_sgpr_kernarg_segment_ptr 1
		.amdhsa_user_sgpr_dispatch_id 0
		.amdhsa_user_sgpr_flat_scratch_init 0
		.amdhsa_user_sgpr_kernarg_preload_length 0
		.amdhsa_user_sgpr_kernarg_preload_offset 0
		.amdhsa_user_sgpr_private_segment_size 0
		.amdhsa_uses_dynamic_stack 0
		.amdhsa_system_sgpr_private_segment_wavefront_offset 0
		.amdhsa_system_sgpr_workgroup_id_x 1
		.amdhsa_system_sgpr_workgroup_id_y 0
		.amdhsa_system_sgpr_workgroup_id_z 0
		.amdhsa_system_sgpr_workgroup_info 0
		.amdhsa_system_vgpr_workitem_id 0
		.amdhsa_next_free_vgpr 2
		.amdhsa_next_free_sgpr 40
		.amdhsa_accum_offset 4
		.amdhsa_reserve_vcc 1
		.amdhsa_reserve_flat_scratch 0
		.amdhsa_float_round_mode_32 0
		.amdhsa_float_round_mode_16_64 0
		.amdhsa_float_denorm_mode_32 3
		.amdhsa_float_denorm_mode_16_64 3
		.amdhsa_dx10_clamp 1
		.amdhsa_ieee_mode 1
		.amdhsa_fp16_overflow 0
		.amdhsa_tg_split 0
		.amdhsa_exception_fp_ieee_invalid_op 0
		.amdhsa_exception_fp_denorm_src 0
		.amdhsa_exception_fp_ieee_div_zero 0
		.amdhsa_exception_fp_ieee_overflow 0
		.amdhsa_exception_fp_ieee_underflow 0
		.amdhsa_exception_fp_ieee_inexact 0
		.amdhsa_exception_int_div_zero 0
	.end_amdhsa_kernel
	.section	.text._Z21device_test_warp_maskILj3EEvP10TestStatus,"axG",@progbits,_Z21device_test_warp_maskILj3EEvP10TestStatus,comdat
.Lfunc_end52:
	.size	_Z21device_test_warp_maskILj3EEvP10TestStatus, .Lfunc_end52-_Z21device_test_warp_maskILj3EEvP10TestStatus
                                        ; -- End function
	.section	.AMDGPU.csdata,"",@progbits
; Kernel info:
; codeLenInByte = 580
; NumSgprs: 44
; NumVgprs: 2
; NumAgprs: 0
; TotalNumVgprs: 2
; ScratchSize: 0
; MemoryBound: 0
; FloatMode: 240
; IeeeMode: 1
; LDSByteSize: 0 bytes/workgroup (compile time only)
; SGPRBlocks: 5
; VGPRBlocks: 0
; NumSGPRsForWavesPerEU: 44
; NumVGPRsForWavesPerEU: 2
; AccumOffset: 4
; Occupancy: 8
; WaveLimiterHint : 0
; COMPUTE_PGM_RSRC2:SCRATCH_EN: 0
; COMPUTE_PGM_RSRC2:USER_SGPR: 6
; COMPUTE_PGM_RSRC2:TRAP_HANDLER: 0
; COMPUTE_PGM_RSRC2:TGID_X_EN: 1
; COMPUTE_PGM_RSRC2:TGID_Y_EN: 0
; COMPUTE_PGM_RSRC2:TGID_Z_EN: 0
; COMPUTE_PGM_RSRC2:TIDIG_COMP_CNT: 0
; COMPUTE_PGM_RSRC3_GFX90A:ACCUM_OFFSET: 0
; COMPUTE_PGM_RSRC3_GFX90A:TG_SPLIT: 0
	.section	.text._Z21device_test_warp_maskILj4EEvP10TestStatus,"axG",@progbits,_Z21device_test_warp_maskILj4EEvP10TestStatus,comdat
	.protected	_Z21device_test_warp_maskILj4EEvP10TestStatus ; -- Begin function _Z21device_test_warp_maskILj4EEvP10TestStatus
	.globl	_Z21device_test_warp_maskILj4EEvP10TestStatus
	.p2align	8
	.type	_Z21device_test_warp_maskILj4EEvP10TestStatus,@function
_Z21device_test_warp_maskILj4EEvP10TestStatus: ; @_Z21device_test_warp_maskILj4EEvP10TestStatus
; %bb.0:
	v_mbcnt_lo_u32_b32 v1, -1, 0
	v_mbcnt_hi_u32_b32 v1, -1, v1
	v_and_b32_e32 v4, 0x7c, v1
	v_lshlrev_b64 v[2:3], v4, 15
	v_cmp_ne_u32_e32 vcc, 0, v4
	s_mov_b64 s[2:3], -1
                                        ; implicit-def: $sgpr8
	s_and_saveexec_b64 s[0:1], vcc
	s_cbranch_execnz .LBB53_3
; %bb.1:
	s_or_b64 exec, exec, s[0:1]
	v_mov_b32_e32 v5, s8
	s_and_saveexec_b64 s[6:7], s[2:3]
	s_cbranch_execnz .LBB53_8
.LBB53_2:
	s_or_b64 exec, exec, s[6:7]
	s_load_dwordx2 s[0:1], s[4:5], 0x0
	s_waitcnt lgkmcnt(0)
	global_store_byte v0, v5, s[0:1]
	s_endpgm
.LBB53_3:
	v_mov_b32_e32 v7, 0
	s_mov_b64 s[2:3], 0
	s_mov_b64 s[12:13], 0
                                        ; implicit-def: $sgpr6_sgpr7
                                        ; implicit-def: $sgpr10_sgpr11
                                        ; implicit-def: $sgpr8_sgpr9
	s_branch .LBB53_5
.LBB53_4:                               ;   in Loop: Header=BB53_5 Depth=1
	s_or_b64 exec, exec, s[14:15]
	s_xor_b64 s[14:15], s[8:9], -1
	s_and_b64 s[16:17], exec, s[10:11]
	s_or_b64 s[2:3], s[16:17], s[2:3]
	s_andn2_b64 s[6:7], s[6:7], exec
	s_and_b64 s[14:15], s[14:15], exec
	s_or_b64 s[6:7], s[6:7], s[14:15]
	s_andn2_b64 exec, exec, s[2:3]
	s_cbranch_execz .LBB53_7
.LBB53_5:                               ; =>This Inner Loop Header: Depth=1
	v_lshrrev_b64 v[8:9], s12, v[2:3]
	v_and_b32_e32 v6, 1, v8
	v_cmp_eq_u64_e32 vcc, 0, v[6:7]
	s_or_b64 s[8:9], s[8:9], exec
	s_or_b64 s[10:11], s[10:11], exec
	s_and_saveexec_b64 s[14:15], vcc
	s_cbranch_execz .LBB53_4
; %bb.6:                                ;   in Loop: Header=BB53_5 Depth=1
	s_add_u32 s12, s12, 1
	v_cmp_eq_u32_e32 vcc, s12, v4
	s_addc_u32 s13, s13, 0
	s_andn2_b64 s[10:11], s[10:11], exec
	s_and_b64 s[16:17], vcc, exec
	s_andn2_b64 s[8:9], s[8:9], exec
	s_or_b64 s[10:11], s[10:11], s[16:17]
	s_branch .LBB53_4
.LBB53_7:
	s_or_b64 exec, exec, s[2:3]
	s_mov_b32 s8, 0
	s_orn2_b64 s[2:3], s[6:7], exec
	s_or_b64 exec, exec, s[0:1]
	v_mov_b32_e32 v5, s8
	s_and_saveexec_b64 s[6:7], s[2:3]
	s_cbranch_execz .LBB53_2
.LBB53_8:
	v_cmp_gt_u32_e32 vcc, -4, v1
	s_mov_b64 s[2:3], -1
                                        ; implicit-def: $sgpr10
	s_and_saveexec_b64 s[0:1], vcc
	s_cbranch_execz .LBB53_14
; %bb.9:
	v_or_b32_e32 v5, 1, v4
	v_lshrrev_b64 v[6:7], v5, v[2:3]
	v_and_b32_e32 v5, 1, v6
	v_cmp_eq_u32_e32 vcc, 1, v5
	s_mov_b64 s[8:9], 0
	s_and_saveexec_b64 s[2:3], vcc
	s_cbranch_execz .LBB53_13
; %bb.10:
	v_or_b32_e32 v5, 2, v4
	v_lshrrev_b64 v[6:7], v5, v[2:3]
	v_and_b32_e32 v5, 1, v6
	v_cmp_eq_u32_e32 vcc, 1, v5
	s_mov_b64 s[10:11], 0
	s_and_saveexec_b64 s[8:9], vcc
; %bb.11:
	v_or_b32_e32 v1, 3, v1
	v_lshrrev_b64 v[6:7], v1, v[2:3]
	v_and_b32_e32 v1, 1, v6
	v_cmp_eq_u32_e32 vcc, 1, v1
	s_and_b64 s[10:11], vcc, exec
; %bb.12:
	s_or_b64 exec, exec, s[8:9]
	s_and_b64 s[8:9], s[10:11], exec
.LBB53_13:
	s_or_b64 exec, exec, s[2:3]
	s_mov_b32 s10, 0
	s_orn2_b64 s[2:3], s[8:9], exec
.LBB53_14:
	s_or_b64 exec, exec, s[0:1]
	v_mov_b32_e32 v5, s10
	s_and_saveexec_b64 s[8:9], s[2:3]
	s_cbranch_execz .LBB53_20
; %bb.15:
	v_add_u32_e32 v4, 4, v4
	v_cmp_gt_u32_e32 vcc, 64, v4
	s_mov_b64 s[0:1], -1
	s_and_saveexec_b64 s[10:11], vcc
	s_cbranch_execz .LBB53_19
; %bb.16:
	v_mov_b32_e32 v1, 0
	s_mov_b64 s[12:13], 0
                                        ; implicit-def: $sgpr14_sgpr15
.LBB53_17:                              ; =>This Inner Loop Header: Depth=1
	v_lshlrev_b64 v[6:7], v4, 1
	v_and_b32_e32 v7, v7, v3
	v_and_b32_e32 v6, v6, v2
	v_cmp_lt_u32_e32 vcc, 62, v4
	v_cmp_ne_u64_e64 s[2:3], 0, v[6:7]
	v_add_co_u32_e64 v4, s[0:1], 1, v4
	s_or_b64 s[2:3], vcc, s[2:3]
	v_addc_co_u32_e64 v1, s[0:1], 0, v1, s[0:1]
	s_and_b64 s[2:3], exec, s[2:3]
	v_cmp_eq_u64_e64 s[0:1], 0, v[6:7]
	s_or_b64 s[12:13], s[2:3], s[12:13]
	s_andn2_b64 s[2:3], s[14:15], exec
	s_and_b64 s[0:1], s[0:1], exec
	s_or_b64 s[14:15], s[2:3], s[0:1]
	s_andn2_b64 exec, exec, s[12:13]
	s_cbranch_execnz .LBB53_17
; %bb.18:
	s_or_b64 exec, exec, s[12:13]
	s_orn2_b64 s[0:1], s[14:15], exec
.LBB53_19:
	s_or_b64 exec, exec, s[10:11]
	v_cndmask_b32_e64 v5, 0, 1, s[0:1]
.LBB53_20:
	s_or_b64 exec, exec, s[8:9]
	s_or_b64 exec, exec, s[6:7]
	s_load_dwordx2 s[0:1], s[4:5], 0x0
	s_waitcnt lgkmcnt(0)
	global_store_byte v0, v5, s[0:1]
	s_endpgm
	.section	.rodata,"a",@progbits
	.p2align	6, 0x0
	.amdhsa_kernel _Z21device_test_warp_maskILj4EEvP10TestStatus
		.amdhsa_group_segment_fixed_size 0
		.amdhsa_private_segment_fixed_size 0
		.amdhsa_kernarg_size 8
		.amdhsa_user_sgpr_count 6
		.amdhsa_user_sgpr_private_segment_buffer 1
		.amdhsa_user_sgpr_dispatch_ptr 0
		.amdhsa_user_sgpr_queue_ptr 0
		.amdhsa_user_sgpr_kernarg_segment_ptr 1
		.amdhsa_user_sgpr_dispatch_id 0
		.amdhsa_user_sgpr_flat_scratch_init 0
		.amdhsa_user_sgpr_kernarg_preload_length 0
		.amdhsa_user_sgpr_kernarg_preload_offset 0
		.amdhsa_user_sgpr_private_segment_size 0
		.amdhsa_uses_dynamic_stack 0
		.amdhsa_system_sgpr_private_segment_wavefront_offset 0
		.amdhsa_system_sgpr_workgroup_id_x 1
		.amdhsa_system_sgpr_workgroup_id_y 0
		.amdhsa_system_sgpr_workgroup_id_z 0
		.amdhsa_system_sgpr_workgroup_info 0
		.amdhsa_system_vgpr_workitem_id 0
		.amdhsa_next_free_vgpr 10
		.amdhsa_next_free_sgpr 18
		.amdhsa_accum_offset 12
		.amdhsa_reserve_vcc 1
		.amdhsa_reserve_flat_scratch 0
		.amdhsa_float_round_mode_32 0
		.amdhsa_float_round_mode_16_64 0
		.amdhsa_float_denorm_mode_32 3
		.amdhsa_float_denorm_mode_16_64 3
		.amdhsa_dx10_clamp 1
		.amdhsa_ieee_mode 1
		.amdhsa_fp16_overflow 0
		.amdhsa_tg_split 0
		.amdhsa_exception_fp_ieee_invalid_op 0
		.amdhsa_exception_fp_denorm_src 0
		.amdhsa_exception_fp_ieee_div_zero 0
		.amdhsa_exception_fp_ieee_overflow 0
		.amdhsa_exception_fp_ieee_underflow 0
		.amdhsa_exception_fp_ieee_inexact 0
		.amdhsa_exception_int_div_zero 0
	.end_amdhsa_kernel
	.section	.text._Z21device_test_warp_maskILj4EEvP10TestStatus,"axG",@progbits,_Z21device_test_warp_maskILj4EEvP10TestStatus,comdat
.Lfunc_end53:
	.size	_Z21device_test_warp_maskILj4EEvP10TestStatus, .Lfunc_end53-_Z21device_test_warp_maskILj4EEvP10TestStatus
                                        ; -- End function
	.section	.AMDGPU.csdata,"",@progbits
; Kernel info:
; codeLenInByte = 536
; NumSgprs: 22
; NumVgprs: 10
; NumAgprs: 0
; TotalNumVgprs: 10
; ScratchSize: 0
; MemoryBound: 0
; FloatMode: 240
; IeeeMode: 1
; LDSByteSize: 0 bytes/workgroup (compile time only)
; SGPRBlocks: 2
; VGPRBlocks: 1
; NumSGPRsForWavesPerEU: 22
; NumVGPRsForWavesPerEU: 10
; AccumOffset: 12
; Occupancy: 8
; WaveLimiterHint : 0
; COMPUTE_PGM_RSRC2:SCRATCH_EN: 0
; COMPUTE_PGM_RSRC2:USER_SGPR: 6
; COMPUTE_PGM_RSRC2:TRAP_HANDLER: 0
; COMPUTE_PGM_RSRC2:TGID_X_EN: 1
; COMPUTE_PGM_RSRC2:TGID_Y_EN: 0
; COMPUTE_PGM_RSRC2:TGID_Z_EN: 0
; COMPUTE_PGM_RSRC2:TIDIG_COMP_CNT: 0
; COMPUTE_PGM_RSRC3_GFX90A:ACCUM_OFFSET: 2
; COMPUTE_PGM_RSRC3_GFX90A:TG_SPLIT: 0
	.section	.text._Z21device_test_warp_maskILj5EEvP10TestStatus,"axG",@progbits,_Z21device_test_warp_maskILj5EEvP10TestStatus,comdat
	.protected	_Z21device_test_warp_maskILj5EEvP10TestStatus ; -- Begin function _Z21device_test_warp_maskILj5EEvP10TestStatus
	.globl	_Z21device_test_warp_maskILj5EEvP10TestStatus
	.p2align	8
	.type	_Z21device_test_warp_maskILj5EEvP10TestStatus,@function
_Z21device_test_warp_maskILj5EEvP10TestStatus: ; @_Z21device_test_warp_maskILj5EEvP10TestStatus
; %bb.0:
	s_mov_b32 s38, 5
	s_mov_b64 s[20:21], 13
	s_mov_b32 s11, 0
	s_branch .LBB54_3
.LBB54_1:                               ;   in Loop: Header=BB54_3 Depth=1
	s_add_i32 s39, s38, 2
	s_mov_b64 s[18:19], -1
                                        ; implicit-def: $sgpr38
                                        ; implicit-def: $sgpr20_sgpr21
                                        ; implicit-def: $sgpr6_sgpr7
                                        ; implicit-def: $sgpr8_sgpr9
                                        ; implicit-def: $sgpr12_sgpr13
                                        ; implicit-def: $sgpr26_sgpr27
.LBB54_2:                               ;   in Loop: Header=BB54_3 Depth=1
	s_and_b64 vcc, exec, s[36:37]
	s_cbranch_vccnz .LBB54_14
.LBB54_3:                               ; =>This Inner Loop Header: Depth=1
	s_mov_b64 s[0:1], s[20:21]
	s_add_u32 s33, s0, -7
	s_lshl_b64 s[2:3], 1, s33
	s_and_b32 s10, s2, 30
	s_mov_b64 s[14:15], -1
	s_cmp_lg_u64 s[10:11], 0
	s_mov_b64 s[30:31], 0
	s_mov_b64 s[34:35], 0
	;; [unrolled: 1-line block ×7, first 2 shown]
	s_mov_b64 s[36:37], -1
                                        ; implicit-def: $sgpr20_sgpr21
                                        ; implicit-def: $sgpr39
                                        ; implicit-def: $sgpr2_sgpr3
                                        ; implicit-def: $sgpr6_sgpr7
                                        ; implicit-def: $sgpr8_sgpr9
                                        ; implicit-def: $sgpr12_sgpr13
                                        ; implicit-def: $sgpr26_sgpr27
	s_cbranch_scc1 .LBB54_2
; %bb.4:                                ;   in Loop: Header=BB54_3 Depth=1
	s_add_u32 s2, s0, -6
	s_lshl_b64 s[6:7], 1, s2
	s_and_b32 s10, s6, 30
	s_mov_b64 s[16:17], -1
	s_mov_b64 s[14:15], 0
	s_cmp_eq_u64 s[10:11], 0
                                        ; implicit-def: $sgpr20_sgpr21
                                        ; implicit-def: $sgpr39
                                        ; implicit-def: $sgpr6_sgpr7
                                        ; implicit-def: $sgpr8_sgpr9
                                        ; implicit-def: $sgpr12_sgpr13
                                        ; implicit-def: $sgpr26_sgpr27
	s_cbranch_scc0 .LBB54_2
; %bb.5:                                ;   in Loop: Header=BB54_3 Depth=1
	s_cmpk_lg_i32 s0, 0x45
	s_mov_b64 s[16:17], 0
	s_cbranch_scc0 .LBB54_1
; %bb.6:                                ;   in Loop: Header=BB54_3 Depth=1
	s_add_u32 s6, s0, -5
	s_lshl_b64 s[8:9], 1, s6
	s_and_b32 s10, s8, 30
	s_mov_b64 s[22:23], -1
	s_cmp_eq_u64 s[10:11], 0
                                        ; implicit-def: $sgpr20_sgpr21
                                        ; implicit-def: $sgpr8_sgpr9
                                        ; implicit-def: $sgpr12_sgpr13
                                        ; implicit-def: $sgpr26_sgpr27
	s_cbranch_scc0 .LBB54_10
; %bb.7:                                ;   in Loop: Header=BB54_3 Depth=1
	s_add_u32 s8, s0, -4
	s_lshl_b64 s[12:13], 1, s8
	s_and_b32 s10, s12, 30
	s_mov_b64 s[24:25], -1
	s_mov_b64 s[22:23], 0
	s_cmp_eq_u64 s[10:11], 0
                                        ; implicit-def: $sgpr20_sgpr21
                                        ; implicit-def: $sgpr12_sgpr13
                                        ; implicit-def: $sgpr26_sgpr27
	s_cbranch_scc0 .LBB54_10
; %bb.8:                                ;   in Loop: Header=BB54_3 Depth=1
	s_add_u32 s12, s0, -3
	s_lshl_b64 s[20:21], 1, s12
	s_and_b32 s10, s20, 30
	s_mov_b64 s[28:29], -1
	s_mov_b64 s[24:25], 0
	s_cmp_eq_u64 s[10:11], 0
                                        ; implicit-def: $sgpr20_sgpr21
                                        ; implicit-def: $sgpr26_sgpr27
	s_cbranch_scc0 .LBB54_10
; %bb.9:                                ;   in Loop: Header=BB54_3 Depth=1
	s_add_u32 s26, s0, -2
	s_lshl_b64 s[20:21], 1, s26
	s_and_b32 s10, s20, 30
	s_mov_b64 s[34:35], -1
	s_mov_b64 s[28:29], 0
	s_cmp_eq_u64 s[10:11], 0
                                        ; implicit-def: $sgpr20_sgpr21
	s_cbranch_scc1 .LBB54_11
.LBB54_10:                              ;   in Loop: Header=BB54_3 Depth=1
                                        ; implicit-def: $sgpr39
	s_branch .LBB54_2
.LBB54_11:                              ;   in Loop: Header=BB54_3 Depth=1
	s_add_i32 s3, s0, -1
	s_lshl_b64 s[20:21], 1, s3
	s_and_b32 s10, s20, 30
	s_mov_b64 s[30:31], -1
	s_cmp_eq_u64 s[10:11], 0
                                        ; implicit-def: $sgpr20_sgpr21
	s_cbranch_scc0 .LBB54_13
; %bb.12:                               ;   in Loop: Header=BB54_3 Depth=1
	s_lshl_b64 s[20:21], 1, s0
	s_add_i32 s38, s38, 8
	s_and_b32 s10, s20, 30
	s_cmp_lg_u64 s[10:11], 0
	s_cselect_b64 s[36:37], -1, 0
	s_add_u32 s20, s0, 8
	s_addc_u32 s21, s1, 0
	s_mov_b64 s[30:31], 0
.LBB54_13:                              ;   in Loop: Header=BB54_3 Depth=1
	s_mov_b64 s[34:35], 0
                                        ; implicit-def: $sgpr39
	s_branch .LBB54_2
.LBB54_14:
	s_mov_b64 s[10:11], -1
	s_and_b64 vcc, exec, s[14:15]
	s_cbranch_vccnz .LBB54_45
; %bb.15:
	s_xor_b64 s[10:11], s[16:17], -1
	s_andn2_b64 vcc, exec, s[10:11]
	s_cbranch_vccnz .LBB54_23
; %bb.16:
	s_xor_b64 s[10:11], s[18:19], -1
	s_andn2_b64 vcc, exec, s[10:11]
	;; [unrolled: 4-line block ×6, first 2 shown]
	s_cbranch_vccnz .LBB54_27
; %bb.21:
	s_xor_b64 s[10:11], s[30:31], -1
	s_and_b64 vcc, exec, s[10:11]
	s_cbranch_vccz .LBB54_28
; %bb.22:
	s_add_i32 s39, s20, -9
	s_mov_b64 s[10:11], 0
	s_branch .LBB54_29
.LBB54_23:
                                        ; implicit-def: $sgpr39
	s_branch .LBB54_43
.LBB54_24:
                                        ; implicit-def: $sgpr39
	s_branch .LBB54_41
.LBB54_25:
	s_mov_b64 s[8:9], -1
                                        ; implicit-def: $sgpr39
	s_branch .LBB54_38
.LBB54_26:
	s_mov_b64 s[10:11], -1
                                        ; implicit-def: $sgpr39
	s_branch .LBB54_35
.LBB54_27:
	s_mov_b64 s[10:11], -1
                                        ; implicit-def: $sgpr39
	s_branch .LBB54_32
.LBB54_28:
	s_mov_b64 s[10:11], -1
                                        ; implicit-def: $sgpr39
.LBB54_29:
	s_andn2_b64 vcc, exec, s[10:11]
	s_cbranch_vccnz .LBB54_31
; %bb.30:
	s_mov_b32 s39, s26
.LBB54_31:
	s_mov_b64 s[10:11], 0
.LBB54_32:
	s_andn2_b64 vcc, exec, s[10:11]
	s_cbranch_vccnz .LBB54_34
; %bb.33:
	s_mov_b32 s39, s12
.LBB54_34:
	s_mov_b64 s[10:11], 0
.LBB54_35:
	s_andn2_b64 vcc, exec, s[10:11]
	s_cbranch_vccnz .LBB54_37
; %bb.36:
	s_mov_b32 s39, s8
.LBB54_37:
	s_mov_b64 s[8:9], 0
.LBB54_38:
	s_andn2_b64 vcc, exec, s[8:9]
	s_cbranch_vccnz .LBB54_40
; %bb.39:
	s_mov_b32 s39, s6
.LBB54_40:
	s_cbranch_execnz .LBB54_42
.LBB54_41:
	s_mov_b32 s39, s2
.LBB54_42:
	s_cbranch_execnz .LBB54_44
.LBB54_43:
	s_mov_b32 s39, s33
.LBB54_44:
	s_mov_b64 s[10:11], 0
.LBB54_45:
	s_andn2_b64 vcc, exec, s[10:11]
	s_cbranch_vccnz .LBB54_47
; %bb.46:
	s_add_i32 s39, s0, -8
.LBB54_47:
	s_load_dwordx2 s[0:1], s[4:5], 0x0
	s_cmp_gt_u32 s39, 62
	s_cselect_b64 s[2:3], -1, 0
	v_cndmask_b32_e64 v1, 0, 1, s[2:3]
	s_waitcnt lgkmcnt(0)
	global_store_byte v0, v1, s[0:1]
	s_endpgm
	.section	.rodata,"a",@progbits
	.p2align	6, 0x0
	.amdhsa_kernel _Z21device_test_warp_maskILj5EEvP10TestStatus
		.amdhsa_group_segment_fixed_size 0
		.amdhsa_private_segment_fixed_size 0
		.amdhsa_kernarg_size 8
		.amdhsa_user_sgpr_count 6
		.amdhsa_user_sgpr_private_segment_buffer 1
		.amdhsa_user_sgpr_dispatch_ptr 0
		.amdhsa_user_sgpr_queue_ptr 0
		.amdhsa_user_sgpr_kernarg_segment_ptr 1
		.amdhsa_user_sgpr_dispatch_id 0
		.amdhsa_user_sgpr_flat_scratch_init 0
		.amdhsa_user_sgpr_kernarg_preload_length 0
		.amdhsa_user_sgpr_kernarg_preload_offset 0
		.amdhsa_user_sgpr_private_segment_size 0
		.amdhsa_uses_dynamic_stack 0
		.amdhsa_system_sgpr_private_segment_wavefront_offset 0
		.amdhsa_system_sgpr_workgroup_id_x 1
		.amdhsa_system_sgpr_workgroup_id_y 0
		.amdhsa_system_sgpr_workgroup_id_z 0
		.amdhsa_system_sgpr_workgroup_info 0
		.amdhsa_system_vgpr_workitem_id 0
		.amdhsa_next_free_vgpr 2
		.amdhsa_next_free_sgpr 40
		.amdhsa_accum_offset 4
		.amdhsa_reserve_vcc 1
		.amdhsa_reserve_flat_scratch 0
		.amdhsa_float_round_mode_32 0
		.amdhsa_float_round_mode_16_64 0
		.amdhsa_float_denorm_mode_32 3
		.amdhsa_float_denorm_mode_16_64 3
		.amdhsa_dx10_clamp 1
		.amdhsa_ieee_mode 1
		.amdhsa_fp16_overflow 0
		.amdhsa_tg_split 0
		.amdhsa_exception_fp_ieee_invalid_op 0
		.amdhsa_exception_fp_denorm_src 0
		.amdhsa_exception_fp_ieee_div_zero 0
		.amdhsa_exception_fp_ieee_overflow 0
		.amdhsa_exception_fp_ieee_underflow 0
		.amdhsa_exception_fp_ieee_inexact 0
		.amdhsa_exception_int_div_zero 0
	.end_amdhsa_kernel
	.section	.text._Z21device_test_warp_maskILj5EEvP10TestStatus,"axG",@progbits,_Z21device_test_warp_maskILj5EEvP10TestStatus,comdat
.Lfunc_end54:
	.size	_Z21device_test_warp_maskILj5EEvP10TestStatus, .Lfunc_end54-_Z21device_test_warp_maskILj5EEvP10TestStatus
                                        ; -- End function
	.section	.AMDGPU.csdata,"",@progbits
; Kernel info:
; codeLenInByte = 584
; NumSgprs: 44
; NumVgprs: 2
; NumAgprs: 0
; TotalNumVgprs: 2
; ScratchSize: 0
; MemoryBound: 0
; FloatMode: 240
; IeeeMode: 1
; LDSByteSize: 0 bytes/workgroup (compile time only)
; SGPRBlocks: 5
; VGPRBlocks: 0
; NumSGPRsForWavesPerEU: 44
; NumVGPRsForWavesPerEU: 2
; AccumOffset: 4
; Occupancy: 8
; WaveLimiterHint : 0
; COMPUTE_PGM_RSRC2:SCRATCH_EN: 0
; COMPUTE_PGM_RSRC2:USER_SGPR: 6
; COMPUTE_PGM_RSRC2:TRAP_HANDLER: 0
; COMPUTE_PGM_RSRC2:TGID_X_EN: 1
; COMPUTE_PGM_RSRC2:TGID_Y_EN: 0
; COMPUTE_PGM_RSRC2:TGID_Z_EN: 0
; COMPUTE_PGM_RSRC2:TIDIG_COMP_CNT: 0
; COMPUTE_PGM_RSRC3_GFX90A:ACCUM_OFFSET: 0
; COMPUTE_PGM_RSRC3_GFX90A:TG_SPLIT: 0
	.section	.text._Z21device_test_warp_maskILj6EEvP10TestStatus,"axG",@progbits,_Z21device_test_warp_maskILj6EEvP10TestStatus,comdat
	.protected	_Z21device_test_warp_maskILj6EEvP10TestStatus ; -- Begin function _Z21device_test_warp_maskILj6EEvP10TestStatus
	.globl	_Z21device_test_warp_maskILj6EEvP10TestStatus
	.p2align	8
	.type	_Z21device_test_warp_maskILj6EEvP10TestStatus,@function
_Z21device_test_warp_maskILj6EEvP10TestStatus: ; @_Z21device_test_warp_maskILj6EEvP10TestStatus
; %bb.0:
	s_mov_b32 s12, 6
	s_mov_b64 s[6:7], 7
	s_mov_b32 s3, 0
	s_branch .LBB55_3
.LBB55_1:                               ;   in Loop: Header=BB55_3 Depth=1
	s_mov_b64 s[10:11], 0
.LBB55_2:                               ;   in Loop: Header=BB55_3 Depth=1
	s_and_b64 vcc, exec, s[8:9]
	s_cbranch_vccnz .LBB55_6
.LBB55_3:                               ; =>This Inner Loop Header: Depth=1
	s_mov_b64 s[0:1], s[6:7]
	s_lshl_b64 s[6:7], 1, s0
	s_and_b32 s2, s6, 42
	s_mov_b64 s[10:11], -1
	s_cmp_lg_u64 s[2:3], 0
	s_mov_b64 s[8:9], -1
                                        ; implicit-def: $sgpr6_sgpr7
                                        ; implicit-def: $sgpr13
	s_cbranch_scc1 .LBB55_2
; %bb.4:                                ;   in Loop: Header=BB55_3 Depth=1
	s_cmp_lg_u32 s0, 63
	s_mov_b32 s13, 63
                                        ; implicit-def: $sgpr6_sgpr7
	s_cbranch_scc0 .LBB55_1
; %bb.5:                                ;   in Loop: Header=BB55_3 Depth=1
	s_add_i32 s2, s0, 1
	s_lshl_b64 s[6:7], 1, s2
	s_or_b32 s13, s12, 1
	s_and_b32 s2, s6, 20
	s_cmp_lg_u64 s[2:3], 0
	s_cselect_b64 s[8:9], -1, 0
	s_add_u32 s6, s0, 2
	s_addc_u32 s7, s1, 0
	s_add_i32 s12, s12, 2
	s_branch .LBB55_1
.LBB55_6:
	s_and_b64 vcc, exec, s[10:11]
	s_cbranch_vccz .LBB55_8
; %bb.7:
	s_add_i32 s13, s0, -1
.LBB55_8:
	s_load_dwordx2 s[0:1], s[4:5], 0x0
	s_cmp_gt_u32 s13, 62
	s_cselect_b64 s[2:3], -1, 0
	v_cndmask_b32_e64 v1, 0, 1, s[2:3]
	s_waitcnt lgkmcnt(0)
	global_store_byte v0, v1, s[0:1]
	s_endpgm
	.section	.rodata,"a",@progbits
	.p2align	6, 0x0
	.amdhsa_kernel _Z21device_test_warp_maskILj6EEvP10TestStatus
		.amdhsa_group_segment_fixed_size 0
		.amdhsa_private_segment_fixed_size 0
		.amdhsa_kernarg_size 8
		.amdhsa_user_sgpr_count 6
		.amdhsa_user_sgpr_private_segment_buffer 1
		.amdhsa_user_sgpr_dispatch_ptr 0
		.amdhsa_user_sgpr_queue_ptr 0
		.amdhsa_user_sgpr_kernarg_segment_ptr 1
		.amdhsa_user_sgpr_dispatch_id 0
		.amdhsa_user_sgpr_flat_scratch_init 0
		.amdhsa_user_sgpr_kernarg_preload_length 0
		.amdhsa_user_sgpr_kernarg_preload_offset 0
		.amdhsa_user_sgpr_private_segment_size 0
		.amdhsa_uses_dynamic_stack 0
		.amdhsa_system_sgpr_private_segment_wavefront_offset 0
		.amdhsa_system_sgpr_workgroup_id_x 1
		.amdhsa_system_sgpr_workgroup_id_y 0
		.amdhsa_system_sgpr_workgroup_id_z 0
		.amdhsa_system_sgpr_workgroup_info 0
		.amdhsa_system_vgpr_workitem_id 0
		.amdhsa_next_free_vgpr 2
		.amdhsa_next_free_sgpr 14
		.amdhsa_accum_offset 4
		.amdhsa_reserve_vcc 1
		.amdhsa_reserve_flat_scratch 0
		.amdhsa_float_round_mode_32 0
		.amdhsa_float_round_mode_16_64 0
		.amdhsa_float_denorm_mode_32 3
		.amdhsa_float_denorm_mode_16_64 3
		.amdhsa_dx10_clamp 1
		.amdhsa_ieee_mode 1
		.amdhsa_fp16_overflow 0
		.amdhsa_tg_split 0
		.amdhsa_exception_fp_ieee_invalid_op 0
		.amdhsa_exception_fp_denorm_src 0
		.amdhsa_exception_fp_ieee_div_zero 0
		.amdhsa_exception_fp_ieee_overflow 0
		.amdhsa_exception_fp_ieee_underflow 0
		.amdhsa_exception_fp_ieee_inexact 0
		.amdhsa_exception_int_div_zero 0
	.end_amdhsa_kernel
	.section	.text._Z21device_test_warp_maskILj6EEvP10TestStatus,"axG",@progbits,_Z21device_test_warp_maskILj6EEvP10TestStatus,comdat
.Lfunc_end55:
	.size	_Z21device_test_warp_maskILj6EEvP10TestStatus, .Lfunc_end55-_Z21device_test_warp_maskILj6EEvP10TestStatus
                                        ; -- End function
	.section	.AMDGPU.csdata,"",@progbits
; Kernel info:
; codeLenInByte = 160
; NumSgprs: 18
; NumVgprs: 2
; NumAgprs: 0
; TotalNumVgprs: 2
; ScratchSize: 0
; MemoryBound: 0
; FloatMode: 240
; IeeeMode: 1
; LDSByteSize: 0 bytes/workgroup (compile time only)
; SGPRBlocks: 2
; VGPRBlocks: 0
; NumSGPRsForWavesPerEU: 18
; NumVGPRsForWavesPerEU: 2
; AccumOffset: 4
; Occupancy: 8
; WaveLimiterHint : 0
; COMPUTE_PGM_RSRC2:SCRATCH_EN: 0
; COMPUTE_PGM_RSRC2:USER_SGPR: 6
; COMPUTE_PGM_RSRC2:TRAP_HANDLER: 0
; COMPUTE_PGM_RSRC2:TGID_X_EN: 1
; COMPUTE_PGM_RSRC2:TGID_Y_EN: 0
; COMPUTE_PGM_RSRC2:TGID_Z_EN: 0
; COMPUTE_PGM_RSRC2:TIDIG_COMP_CNT: 0
; COMPUTE_PGM_RSRC3_GFX90A:ACCUM_OFFSET: 0
; COMPUTE_PGM_RSRC3_GFX90A:TG_SPLIT: 0
	.section	.text._Z21device_test_warp_maskILj7EEvP10TestStatus,"axG",@progbits,_Z21device_test_warp_maskILj7EEvP10TestStatus,comdat
	.protected	_Z21device_test_warp_maskILj7EEvP10TestStatus ; -- Begin function _Z21device_test_warp_maskILj7EEvP10TestStatus
	.globl	_Z21device_test_warp_maskILj7EEvP10TestStatus
	.p2align	8
	.type	_Z21device_test_warp_maskILj7EEvP10TestStatus,@function
_Z21device_test_warp_maskILj7EEvP10TestStatus: ; @_Z21device_test_warp_maskILj7EEvP10TestStatus
; %bb.0:
	s_mov_b32 s20, 7
	s_mov_b64 s[10:11], 10
	s_mov_b32 s3, 0
	s_branch .LBB56_3
.LBB56_1:                               ;   in Loop: Header=BB56_3 Depth=1
	s_mov_b64 s[14:15], 0
.LBB56_2:                               ;   in Loop: Header=BB56_3 Depth=1
	s_and_b64 vcc, exec, s[16:17]
	s_cbranch_vccnz .LBB56_7
.LBB56_3:                               ; =>This Inner Loop Header: Depth=1
	s_mov_b64 s[0:1], s[10:11]
	s_add_u32 s18, s0, -2
	s_lshl_b64 s[6:7], 1, s18
	s_and_b32 s2, s6, 0x7e
	s_cmp_lg_u64 s[2:3], 0
	s_mov_b64 s[12:13], 0
	s_mov_b64 s[14:15], 0
	s_mov_b64 s[8:9], -1
	s_mov_b64 s[16:17], -1
                                        ; implicit-def: $sgpr10_sgpr11
                                        ; implicit-def: $sgpr19
                                        ; implicit-def: $sgpr6_sgpr7
	s_cbranch_scc1 .LBB56_2
; %bb.4:                                ;   in Loop: Header=BB56_3 Depth=1
	s_add_u32 s6, s0, -1
	s_lshl_b64 s[8:9], 1, s6
	s_and_b32 s2, s8, 0x7e
	s_mov_b64 s[14:15], -1
	s_mov_b64 s[8:9], 0
	s_cmp_eq_u64 s[2:3], 0
                                        ; implicit-def: $sgpr10_sgpr11
                                        ; implicit-def: $sgpr19
	s_cbranch_scc0 .LBB56_2
; %bb.5:                                ;   in Loop: Header=BB56_3 Depth=1
	s_mov_b64 s[12:13], -1
	s_cmp_lg_u32 s0, 64
                                        ; implicit-def: $sgpr10_sgpr11
                                        ; implicit-def: $sgpr19
	s_cbranch_scc0 .LBB56_1
; %bb.6:                                ;   in Loop: Header=BB56_3 Depth=1
	s_lshl_b64 s[10:11], 1, s0
	s_add_i32 s19, s20, 2
	s_and_b32 s2, s10, 0x7e
	s_cmp_lg_u64 s[2:3], 0
	s_cselect_b64 s[16:17], -1, 0
	s_add_u32 s10, s0, 3
	s_addc_u32 s11, s1, 0
	s_add_i32 s20, s20, 3
	s_mov_b64 s[12:13], 0
	s_branch .LBB56_1
.LBB56_7:
	s_mov_b64 s[2:3], -1
	s_and_b64 vcc, exec, s[8:9]
	s_cbranch_vccnz .LBB56_15
; %bb.8:
	s_xor_b64 s[2:3], s[14:15], -1
	s_andn2_b64 vcc, exec, s[2:3]
	s_cbranch_vccnz .LBB56_12
; %bb.9:
	s_and_b64 vcc, exec, s[12:13]
	s_cbranch_vccz .LBB56_11
; %bb.10:
	s_mov_b32 s19, s6
.LBB56_11:
	s_cbranch_execz .LBB56_13
	s_branch .LBB56_14
.LBB56_12:
                                        ; implicit-def: $sgpr19
.LBB56_13:
	s_mov_b32 s19, s18
.LBB56_14:
	s_mov_b64 s[2:3], 0
.LBB56_15:
	s_andn2_b64 vcc, exec, s[2:3]
	s_cbranch_vccnz .LBB56_17
; %bb.16:
	s_add_i32 s19, s0, -3
.LBB56_17:
	s_load_dwordx2 s[0:1], s[4:5], 0x0
	s_cmp_gt_u32 s19, 62
	s_cselect_b64 s[2:3], -1, 0
	v_cndmask_b32_e64 v1, 0, 1, s[2:3]
	s_waitcnt lgkmcnt(0)
	global_store_byte v0, v1, s[0:1]
	s_endpgm
	.section	.rodata,"a",@progbits
	.p2align	6, 0x0
	.amdhsa_kernel _Z21device_test_warp_maskILj7EEvP10TestStatus
		.amdhsa_group_segment_fixed_size 0
		.amdhsa_private_segment_fixed_size 0
		.amdhsa_kernarg_size 8
		.amdhsa_user_sgpr_count 6
		.amdhsa_user_sgpr_private_segment_buffer 1
		.amdhsa_user_sgpr_dispatch_ptr 0
		.amdhsa_user_sgpr_queue_ptr 0
		.amdhsa_user_sgpr_kernarg_segment_ptr 1
		.amdhsa_user_sgpr_dispatch_id 0
		.amdhsa_user_sgpr_flat_scratch_init 0
		.amdhsa_user_sgpr_kernarg_preload_length 0
		.amdhsa_user_sgpr_kernarg_preload_offset 0
		.amdhsa_user_sgpr_private_segment_size 0
		.amdhsa_uses_dynamic_stack 0
		.amdhsa_system_sgpr_private_segment_wavefront_offset 0
		.amdhsa_system_sgpr_workgroup_id_x 1
		.amdhsa_system_sgpr_workgroup_id_y 0
		.amdhsa_system_sgpr_workgroup_id_z 0
		.amdhsa_system_sgpr_workgroup_info 0
		.amdhsa_system_vgpr_workitem_id 0
		.amdhsa_next_free_vgpr 2
		.amdhsa_next_free_sgpr 21
		.amdhsa_accum_offset 4
		.amdhsa_reserve_vcc 1
		.amdhsa_reserve_flat_scratch 0
		.amdhsa_float_round_mode_32 0
		.amdhsa_float_round_mode_16_64 0
		.amdhsa_float_denorm_mode_32 3
		.amdhsa_float_denorm_mode_16_64 3
		.amdhsa_dx10_clamp 1
		.amdhsa_ieee_mode 1
		.amdhsa_fp16_overflow 0
		.amdhsa_tg_split 0
		.amdhsa_exception_fp_ieee_invalid_op 0
		.amdhsa_exception_fp_denorm_src 0
		.amdhsa_exception_fp_ieee_div_zero 0
		.amdhsa_exception_fp_ieee_overflow 0
		.amdhsa_exception_fp_ieee_underflow 0
		.amdhsa_exception_fp_ieee_inexact 0
		.amdhsa_exception_int_div_zero 0
	.end_amdhsa_kernel
	.section	.text._Z21device_test_warp_maskILj7EEvP10TestStatus,"axG",@progbits,_Z21device_test_warp_maskILj7EEvP10TestStatus,comdat
.Lfunc_end56:
	.size	_Z21device_test_warp_maskILj7EEvP10TestStatus, .Lfunc_end56-_Z21device_test_warp_maskILj7EEvP10TestStatus
                                        ; -- End function
	.section	.AMDGPU.csdata,"",@progbits
; Kernel info:
; codeLenInByte = 264
; NumSgprs: 25
; NumVgprs: 2
; NumAgprs: 0
; TotalNumVgprs: 2
; ScratchSize: 0
; MemoryBound: 0
; FloatMode: 240
; IeeeMode: 1
; LDSByteSize: 0 bytes/workgroup (compile time only)
; SGPRBlocks: 3
; VGPRBlocks: 0
; NumSGPRsForWavesPerEU: 25
; NumVGPRsForWavesPerEU: 2
; AccumOffset: 4
; Occupancy: 8
; WaveLimiterHint : 0
; COMPUTE_PGM_RSRC2:SCRATCH_EN: 0
; COMPUTE_PGM_RSRC2:USER_SGPR: 6
; COMPUTE_PGM_RSRC2:TRAP_HANDLER: 0
; COMPUTE_PGM_RSRC2:TGID_X_EN: 1
; COMPUTE_PGM_RSRC2:TGID_Y_EN: 0
; COMPUTE_PGM_RSRC2:TGID_Z_EN: 0
; COMPUTE_PGM_RSRC2:TIDIG_COMP_CNT: 0
; COMPUTE_PGM_RSRC3_GFX90A:ACCUM_OFFSET: 0
; COMPUTE_PGM_RSRC3_GFX90A:TG_SPLIT: 0
	.section	.text._Z21device_test_warp_maskILj8EEvP10TestStatus,"axG",@progbits,_Z21device_test_warp_maskILj8EEvP10TestStatus,comdat
	.protected	_Z21device_test_warp_maskILj8EEvP10TestStatus ; -- Begin function _Z21device_test_warp_maskILj8EEvP10TestStatus
	.globl	_Z21device_test_warp_maskILj8EEvP10TestStatus
	.p2align	8
	.type	_Z21device_test_warp_maskILj8EEvP10TestStatus,@function
_Z21device_test_warp_maskILj8EEvP10TestStatus: ; @_Z21device_test_warp_maskILj8EEvP10TestStatus
; %bb.0:
	v_mbcnt_lo_u32_b32 v1, -1, 0
	v_mbcnt_hi_u32_b32 v1, -1, v1
	v_and_b32_e32 v4, 0x78, v1
	s_mov_b64 s[0:1], 0xff
	v_lshlrev_b64 v[2:3], v4, s[0:1]
	v_cmp_ne_u32_e32 vcc, 0, v4
	s_mov_b64 s[2:3], -1
                                        ; implicit-def: $sgpr8
	s_and_saveexec_b64 s[0:1], vcc
	s_cbranch_execnz .LBB57_3
; %bb.1:
	s_or_b64 exec, exec, s[0:1]
	v_mov_b32_e32 v5, s8
	s_and_saveexec_b64 s[6:7], s[2:3]
	s_cbranch_execnz .LBB57_8
.LBB57_2:
	s_or_b64 exec, exec, s[6:7]
	s_load_dwordx2 s[0:1], s[4:5], 0x0
	s_waitcnt lgkmcnt(0)
	global_store_byte v0, v5, s[0:1]
	s_endpgm
.LBB57_3:
	v_mov_b32_e32 v7, 0
	s_mov_b64 s[2:3], 0
	s_mov_b64 s[12:13], 0
                                        ; implicit-def: $sgpr6_sgpr7
                                        ; implicit-def: $sgpr10_sgpr11
                                        ; implicit-def: $sgpr8_sgpr9
	s_branch .LBB57_5
.LBB57_4:                               ;   in Loop: Header=BB57_5 Depth=1
	s_or_b64 exec, exec, s[14:15]
	s_xor_b64 s[14:15], s[8:9], -1
	s_and_b64 s[16:17], exec, s[10:11]
	s_or_b64 s[2:3], s[16:17], s[2:3]
	s_andn2_b64 s[6:7], s[6:7], exec
	s_and_b64 s[14:15], s[14:15], exec
	s_or_b64 s[6:7], s[6:7], s[14:15]
	s_andn2_b64 exec, exec, s[2:3]
	s_cbranch_execz .LBB57_7
.LBB57_5:                               ; =>This Inner Loop Header: Depth=1
	v_lshrrev_b64 v[8:9], s12, v[2:3]
	v_and_b32_e32 v6, 1, v8
	v_cmp_eq_u64_e32 vcc, 0, v[6:7]
	s_or_b64 s[8:9], s[8:9], exec
	s_or_b64 s[10:11], s[10:11], exec
	s_and_saveexec_b64 s[14:15], vcc
	s_cbranch_execz .LBB57_4
; %bb.6:                                ;   in Loop: Header=BB57_5 Depth=1
	s_add_u32 s12, s12, 1
	v_cmp_eq_u32_e32 vcc, s12, v4
	s_addc_u32 s13, s13, 0
	s_andn2_b64 s[10:11], s[10:11], exec
	s_and_b64 s[16:17], vcc, exec
	s_andn2_b64 s[8:9], s[8:9], exec
	s_or_b64 s[10:11], s[10:11], s[16:17]
	s_branch .LBB57_4
.LBB57_7:
	s_or_b64 exec, exec, s[2:3]
	s_mov_b32 s8, 0
	s_orn2_b64 s[2:3], s[6:7], exec
	s_or_b64 exec, exec, s[0:1]
	v_mov_b32_e32 v5, s8
	s_and_saveexec_b64 s[6:7], s[2:3]
	s_cbranch_execz .LBB57_2
.LBB57_8:
	v_cmp_gt_u32_e32 vcc, -8, v1
	s_mov_b64 s[2:3], -1
                                        ; implicit-def: $sgpr10
	s_and_saveexec_b64 s[0:1], vcc
	s_cbranch_execz .LBB57_22
; %bb.9:
	v_or_b32_e32 v5, 1, v4
	v_lshrrev_b64 v[6:7], v5, v[2:3]
	v_and_b32_e32 v5, 1, v6
	v_cmp_eq_u32_e32 vcc, 1, v5
	s_mov_b64 s[8:9], 0
	s_and_saveexec_b64 s[2:3], vcc
	s_cbranch_execz .LBB57_21
; %bb.10:
	v_or_b32_e32 v5, 2, v4
	v_lshrrev_b64 v[6:7], v5, v[2:3]
	v_and_b32_e32 v5, 1, v6
	v_cmp_eq_u32_e32 vcc, 1, v5
	s_mov_b64 s[10:11], 0
	;; [unrolled: 8-line block ×6, first 2 shown]
	s_and_saveexec_b64 s[16:17], vcc
; %bb.15:
	v_or_b32_e32 v1, 7, v1
	v_lshrrev_b64 v[6:7], v1, v[2:3]
	v_and_b32_e32 v1, 1, v6
	v_cmp_eq_u32_e32 vcc, 1, v1
	s_and_b64 s[18:19], vcc, exec
; %bb.16:
	s_or_b64 exec, exec, s[16:17]
	s_and_b64 s[16:17], s[18:19], exec
.LBB57_17:
	s_or_b64 exec, exec, s[14:15]
	s_and_b64 s[14:15], s[16:17], exec
.LBB57_18:
	s_or_b64 exec, exec, s[12:13]
	s_and_b64 s[12:13], s[14:15], exec
.LBB57_19:
	s_or_b64 exec, exec, s[10:11]
	s_and_b64 s[10:11], s[12:13], exec
.LBB57_20:
	s_or_b64 exec, exec, s[8:9]
	s_and_b64 s[8:9], s[10:11], exec
.LBB57_21:
	s_or_b64 exec, exec, s[2:3]
	s_mov_b32 s10, 0
	s_orn2_b64 s[2:3], s[8:9], exec
.LBB57_22:
	s_or_b64 exec, exec, s[0:1]
	v_mov_b32_e32 v5, s10
	s_and_saveexec_b64 s[8:9], s[2:3]
	s_cbranch_execz .LBB57_28
; %bb.23:
	v_add_u32_e32 v4, 8, v4
	v_cmp_gt_u32_e32 vcc, 64, v4
	s_mov_b64 s[0:1], -1
	s_and_saveexec_b64 s[10:11], vcc
	s_cbranch_execz .LBB57_27
; %bb.24:
	v_mov_b32_e32 v1, 0
	s_mov_b64 s[12:13], 0
                                        ; implicit-def: $sgpr14_sgpr15
.LBB57_25:                              ; =>This Inner Loop Header: Depth=1
	v_lshlrev_b64 v[6:7], v4, 1
	v_and_b32_e32 v7, v7, v3
	v_and_b32_e32 v6, v6, v2
	v_cmp_lt_u32_e32 vcc, 62, v4
	v_cmp_ne_u64_e64 s[2:3], 0, v[6:7]
	v_add_co_u32_e64 v4, s[0:1], 1, v4
	s_or_b64 s[2:3], vcc, s[2:3]
	v_addc_co_u32_e64 v1, s[0:1], 0, v1, s[0:1]
	s_and_b64 s[2:3], exec, s[2:3]
	v_cmp_eq_u64_e64 s[0:1], 0, v[6:7]
	s_or_b64 s[12:13], s[2:3], s[12:13]
	s_andn2_b64 s[2:3], s[14:15], exec
	s_and_b64 s[0:1], s[0:1], exec
	s_or_b64 s[14:15], s[2:3], s[0:1]
	s_andn2_b64 exec, exec, s[12:13]
	s_cbranch_execnz .LBB57_25
; %bb.26:
	s_or_b64 exec, exec, s[12:13]
	s_orn2_b64 s[0:1], s[14:15], exec
.LBB57_27:
	s_or_b64 exec, exec, s[10:11]
	v_cndmask_b32_e64 v5, 0, 1, s[0:1]
.LBB57_28:
	s_or_b64 exec, exec, s[8:9]
	s_or_b64 exec, exec, s[6:7]
	s_load_dwordx2 s[0:1], s[4:5], 0x0
	s_waitcnt lgkmcnt(0)
	global_store_byte v0, v5, s[0:1]
	s_endpgm
	.section	.rodata,"a",@progbits
	.p2align	6, 0x0
	.amdhsa_kernel _Z21device_test_warp_maskILj8EEvP10TestStatus
		.amdhsa_group_segment_fixed_size 0
		.amdhsa_private_segment_fixed_size 0
		.amdhsa_kernarg_size 8
		.amdhsa_user_sgpr_count 6
		.amdhsa_user_sgpr_private_segment_buffer 1
		.amdhsa_user_sgpr_dispatch_ptr 0
		.amdhsa_user_sgpr_queue_ptr 0
		.amdhsa_user_sgpr_kernarg_segment_ptr 1
		.amdhsa_user_sgpr_dispatch_id 0
		.amdhsa_user_sgpr_flat_scratch_init 0
		.amdhsa_user_sgpr_kernarg_preload_length 0
		.amdhsa_user_sgpr_kernarg_preload_offset 0
		.amdhsa_user_sgpr_private_segment_size 0
		.amdhsa_uses_dynamic_stack 0
		.amdhsa_system_sgpr_private_segment_wavefront_offset 0
		.amdhsa_system_sgpr_workgroup_id_x 1
		.amdhsa_system_sgpr_workgroup_id_y 0
		.amdhsa_system_sgpr_workgroup_id_z 0
		.amdhsa_system_sgpr_workgroup_info 0
		.amdhsa_system_vgpr_workitem_id 0
		.amdhsa_next_free_vgpr 10
		.amdhsa_next_free_sgpr 20
		.amdhsa_accum_offset 12
		.amdhsa_reserve_vcc 1
		.amdhsa_reserve_flat_scratch 0
		.amdhsa_float_round_mode_32 0
		.amdhsa_float_round_mode_16_64 0
		.amdhsa_float_denorm_mode_32 3
		.amdhsa_float_denorm_mode_16_64 3
		.amdhsa_dx10_clamp 1
		.amdhsa_ieee_mode 1
		.amdhsa_fp16_overflow 0
		.amdhsa_tg_split 0
		.amdhsa_exception_fp_ieee_invalid_op 0
		.amdhsa_exception_fp_denorm_src 0
		.amdhsa_exception_fp_ieee_div_zero 0
		.amdhsa_exception_fp_ieee_overflow 0
		.amdhsa_exception_fp_ieee_underflow 0
		.amdhsa_exception_fp_ieee_inexact 0
		.amdhsa_exception_int_div_zero 0
	.end_amdhsa_kernel
	.section	.text._Z21device_test_warp_maskILj8EEvP10TestStatus,"axG",@progbits,_Z21device_test_warp_maskILj8EEvP10TestStatus,comdat
.Lfunc_end57:
	.size	_Z21device_test_warp_maskILj8EEvP10TestStatus, .Lfunc_end57-_Z21device_test_warp_maskILj8EEvP10TestStatus
                                        ; -- End function
	.section	.AMDGPU.csdata,"",@progbits
; Kernel info:
; codeLenInByte = 704
; NumSgprs: 24
; NumVgprs: 10
; NumAgprs: 0
; TotalNumVgprs: 10
; ScratchSize: 0
; MemoryBound: 0
; FloatMode: 240
; IeeeMode: 1
; LDSByteSize: 0 bytes/workgroup (compile time only)
; SGPRBlocks: 2
; VGPRBlocks: 1
; NumSGPRsForWavesPerEU: 24
; NumVGPRsForWavesPerEU: 10
; AccumOffset: 12
; Occupancy: 8
; WaveLimiterHint : 0
; COMPUTE_PGM_RSRC2:SCRATCH_EN: 0
; COMPUTE_PGM_RSRC2:USER_SGPR: 6
; COMPUTE_PGM_RSRC2:TRAP_HANDLER: 0
; COMPUTE_PGM_RSRC2:TGID_X_EN: 1
; COMPUTE_PGM_RSRC2:TGID_Y_EN: 0
; COMPUTE_PGM_RSRC2:TGID_Z_EN: 0
; COMPUTE_PGM_RSRC2:TIDIG_COMP_CNT: 0
; COMPUTE_PGM_RSRC3_GFX90A:ACCUM_OFFSET: 2
; COMPUTE_PGM_RSRC3_GFX90A:TG_SPLIT: 0
	.section	.text._Z21device_test_warp_maskILj9EEvP10TestStatus,"axG",@progbits,_Z21device_test_warp_maskILj9EEvP10TestStatus,comdat
	.protected	_Z21device_test_warp_maskILj9EEvP10TestStatus ; -- Begin function _Z21device_test_warp_maskILj9EEvP10TestStatus
	.globl	_Z21device_test_warp_maskILj9EEvP10TestStatus
	.p2align	8
	.type	_Z21device_test_warp_maskILj9EEvP10TestStatus,@function
_Z21device_test_warp_maskILj9EEvP10TestStatus: ; @_Z21device_test_warp_maskILj9EEvP10TestStatus
; %bb.0:
	s_mov_b32 s53, 9
	s_mov_b64 s[46:47], 20
	s_mov_b32 s15, 0
	s_branch .LBB58_3
.LBB58_1:                               ;   in Loop: Header=BB58_3 Depth=1
	s_mov_b64 s[44:45], 0
.LBB58_2:                               ;   in Loop: Header=BB58_3 Depth=1
	s_and_b64 vcc, exec, s[50:51]
	s_cbranch_vccnz .LBB58_15
.LBB58_3:                               ; =>This Inner Loop Header: Depth=1
	s_mov_b64 s[0:1], s[46:47]
	s_add_u32 s33, s0, -10
	s_lshl_b64 s[2:3], 1, s33
	s_and_b32 s14, s2, 0x1fe
	s_cmp_lg_u64 s[14:15], 0
	s_mov_b64 s[36:37], 0
	s_mov_b64 s[44:45], 0
	s_mov_b64 s[40:41], 0
	s_mov_b64 s[38:39], 0
	s_mov_b64 s[34:35], 0
	s_mov_b64 s[30:31], 0
	s_mov_b64 s[28:29], 0
	s_mov_b64 s[24:25], 0
	s_mov_b64 s[22:23], 0
	s_mov_b64 s[18:19], 0
	s_mov_b64 s[20:21], -1
	s_mov_b64 s[50:51], -1
                                        ; implicit-def: $sgpr46_sgpr47
                                        ; implicit-def: $sgpr52
                                        ; implicit-def: $sgpr2_sgpr3
                                        ; implicit-def: $sgpr6_sgpr7
                                        ; implicit-def: $sgpr8_sgpr9
                                        ; implicit-def: $sgpr10_sgpr11
                                        ; implicit-def: $sgpr12_sgpr13
                                        ; implicit-def: $sgpr16_sgpr17
                                        ; implicit-def: $sgpr26_sgpr27
                                        ; implicit-def: $sgpr42_sgpr43
                                        ; implicit-def: $sgpr48_sgpr49
	s_cbranch_scc1 .LBB58_2
; %bb.4:                                ;   in Loop: Header=BB58_3 Depth=1
	s_add_u32 s2, s0, -9
	s_lshl_b64 s[6:7], 1, s2
	s_and_b32 s14, s6, 0x1fe
	s_mov_b64 s[18:19], -1
	s_mov_b64 s[20:21], 0
	s_cmp_eq_u64 s[14:15], 0
                                        ; implicit-def: $sgpr46_sgpr47
                                        ; implicit-def: $sgpr52
                                        ; implicit-def: $sgpr6_sgpr7
                                        ; implicit-def: $sgpr8_sgpr9
                                        ; implicit-def: $sgpr10_sgpr11
                                        ; implicit-def: $sgpr12_sgpr13
                                        ; implicit-def: $sgpr16_sgpr17
                                        ; implicit-def: $sgpr26_sgpr27
                                        ; implicit-def: $sgpr42_sgpr43
                                        ; implicit-def: $sgpr48_sgpr49
	s_cbranch_scc0 .LBB58_2
; %bb.5:                                ;   in Loop: Header=BB58_3 Depth=1
	s_add_u32 s6, s0, -8
	s_lshl_b64 s[8:9], 1, s6
	s_and_b32 s14, s8, 0x1fe
	s_mov_b64 s[22:23], -1
	s_mov_b64 s[18:19], 0
	s_cmp_eq_u64 s[14:15], 0
                                        ; implicit-def: $sgpr46_sgpr47
                                        ; implicit-def: $sgpr52
                                        ; implicit-def: $sgpr8_sgpr9
                                        ; implicit-def: $sgpr10_sgpr11
                                        ; implicit-def: $sgpr12_sgpr13
                                        ; implicit-def: $sgpr16_sgpr17
                                        ; implicit-def: $sgpr26_sgpr27
                                        ; implicit-def: $sgpr42_sgpr43
                                        ; implicit-def: $sgpr48_sgpr49
	s_cbranch_scc0 .LBB58_2
; %bb.6:                                ;   in Loop: Header=BB58_3 Depth=1
	s_add_u32 s8, s0, -7
	s_lshl_b64 s[10:11], 1, s8
	s_and_b32 s14, s10, 0x1fe
	s_mov_b64 s[24:25], -1
	s_mov_b64 s[22:23], 0
	s_cmp_eq_u64 s[14:15], 0
                                        ; implicit-def: $sgpr46_sgpr47
                                        ; implicit-def: $sgpr52
                                        ; implicit-def: $sgpr10_sgpr11
                                        ; implicit-def: $sgpr12_sgpr13
                                        ; implicit-def: $sgpr16_sgpr17
                                        ; implicit-def: $sgpr26_sgpr27
                                        ; implicit-def: $sgpr42_sgpr43
                                        ; implicit-def: $sgpr48_sgpr49
	s_cbranch_scc0 .LBB58_2
; %bb.7:                                ;   in Loop: Header=BB58_3 Depth=1
	s_add_u32 s10, s0, -6
	s_lshl_b64 s[12:13], 1, s10
	s_and_b32 s14, s12, 0x1fe
	s_mov_b64 s[28:29], -1
	s_mov_b64 s[24:25], 0
	s_cmp_eq_u64 s[14:15], 0
                                        ; implicit-def: $sgpr46_sgpr47
                                        ; implicit-def: $sgpr52
                                        ; implicit-def: $sgpr12_sgpr13
                                        ; implicit-def: $sgpr16_sgpr17
                                        ; implicit-def: $sgpr26_sgpr27
                                        ; implicit-def: $sgpr42_sgpr43
                                        ; implicit-def: $sgpr48_sgpr49
	s_cbranch_scc0 .LBB58_2
; %bb.8:                                ;   in Loop: Header=BB58_3 Depth=1
	s_add_u32 s12, s0, -5
	s_lshl_b64 s[16:17], 1, s12
	s_and_b32 s14, s16, 0x1fe
	s_mov_b64 s[30:31], -1
	s_mov_b64 s[28:29], 0
	s_cmp_eq_u64 s[14:15], 0
                                        ; implicit-def: $sgpr46_sgpr47
                                        ; implicit-def: $sgpr52
                                        ; implicit-def: $sgpr16_sgpr17
                                        ; implicit-def: $sgpr26_sgpr27
                                        ; implicit-def: $sgpr42_sgpr43
                                        ; implicit-def: $sgpr48_sgpr49
	s_cbranch_scc0 .LBB58_2
; %bb.9:                                ;   in Loop: Header=BB58_3 Depth=1
	s_add_u32 s16, s0, -4
	s_lshl_b64 s[26:27], 1, s16
	s_and_b32 s14, s26, 0x1fe
	s_mov_b64 s[34:35], -1
	s_mov_b64 s[30:31], 0
	s_cmp_eq_u64 s[14:15], 0
                                        ; implicit-def: $sgpr46_sgpr47
                                        ; implicit-def: $sgpr52
                                        ; implicit-def: $sgpr26_sgpr27
                                        ; implicit-def: $sgpr42_sgpr43
                                        ; implicit-def: $sgpr48_sgpr49
	s_cbranch_scc0 .LBB58_2
; %bb.10:                               ;   in Loop: Header=BB58_3 Depth=1
	s_add_u32 s26, s0, -3
	s_lshl_b64 s[34:35], 1, s26
	s_and_b32 s14, s34, 0x1fe
	s_mov_b64 s[38:39], -1
	s_mov_b64 s[34:35], 0
	s_cmp_eq_u64 s[14:15], 0
                                        ; implicit-def: $sgpr46_sgpr47
                                        ; implicit-def: $sgpr52
                                        ; implicit-def: $sgpr42_sgpr43
                                        ; implicit-def: $sgpr48_sgpr49
	s_cbranch_scc0 .LBB58_2
; %bb.11:                               ;   in Loop: Header=BB58_3 Depth=1
	s_add_u32 s42, s0, -2
	s_lshl_b64 s[36:37], 1, s42
	s_and_b32 s14, s36, 0x1fe
	s_mov_b64 s[40:41], -1
	s_mov_b64 s[38:39], 0
	s_cmp_eq_u64 s[14:15], 0
	s_mov_b64 s[36:37], 0
                                        ; implicit-def: $sgpr46_sgpr47
                                        ; implicit-def: $sgpr52
                                        ; implicit-def: $sgpr48_sgpr49
	s_cbranch_scc0 .LBB58_2
; %bb.12:                               ;   in Loop: Header=BB58_3 Depth=1
	s_add_u32 s48, s0, -1
	s_lshl_b64 s[36:37], 1, s48
	s_and_b32 s14, s36, 0x1fe
	s_mov_b64 s[44:45], -1
	s_mov_b64 s[40:41], 0
	s_cmp_eq_u64 s[14:15], 0
	s_mov_b64 s[36:37], 0
                                        ; implicit-def: $sgpr46_sgpr47
                                        ; implicit-def: $sgpr52
	s_cbranch_scc0 .LBB58_2
; %bb.13:                               ;   in Loop: Header=BB58_3 Depth=1
	s_mov_b64 s[36:37], -1
	s_cmp_lg_u32 s0, 64
                                        ; implicit-def: $sgpr46_sgpr47
                                        ; implicit-def: $sgpr52
	s_cbranch_scc0 .LBB58_1
; %bb.14:                               ;   in Loop: Header=BB58_3 Depth=1
	s_lshl_b64 s[36:37], 1, s0
	s_add_i32 s52, s53, 10
	s_and_b32 s14, s36, 0x1fe
	s_cmp_lg_u64 s[14:15], 0
	s_cselect_b64 s[50:51], -1, 0
	s_add_u32 s46, s0, 11
	s_addc_u32 s47, s1, 0
	s_add_i32 s53, s53, 11
	s_mov_b64 s[36:37], 0
	s_branch .LBB58_1
.LBB58_15:
	s_mov_b64 s[14:15], -1
	s_and_b64 vcc, exec, s[20:21]
	s_cbranch_vccnz .LBB58_61
; %bb.16:
	s_xor_b64 s[14:15], s[18:19], -1
	s_andn2_b64 vcc, exec, s[14:15]
	s_cbranch_vccnz .LBB58_28
; %bb.17:
	s_xor_b64 s[14:15], s[22:23], -1
	s_andn2_b64 vcc, exec, s[14:15]
	;; [unrolled: 4-line block ×9, first 2 shown]
	s_cbranch_vccnz .LBB58_36
; %bb.25:
	s_and_b64 vcc, exec, s[36:37]
	s_cbranch_vccz .LBB58_27
; %bb.26:
	s_mov_b32 s52, s48
.LBB58_27:
	s_mov_b64 s[14:15], 0
	s_branch .LBB58_37
.LBB58_28:
                                        ; implicit-def: $sgpr52
	s_branch .LBB58_59
.LBB58_29:
                                        ; implicit-def: $sgpr52
	s_branch .LBB58_57
.LBB58_30:
                                        ; implicit-def: $sgpr52
	s_branch .LBB58_55
.LBB58_31:
	s_mov_b64 s[10:11], -1
                                        ; implicit-def: $sgpr52
	s_branch .LBB58_52
.LBB58_32:
	s_mov_b64 s[12:13], -1
                                        ; implicit-def: $sgpr52
	s_branch .LBB58_49
.LBB58_33:
	s_mov_b64 s[14:15], -1
                                        ; implicit-def: $sgpr52
	s_branch .LBB58_46
.LBB58_34:
	s_mov_b64 s[14:15], -1
                                        ; implicit-def: $sgpr52
	s_branch .LBB58_43
.LBB58_35:
	s_mov_b64 s[14:15], -1
                                        ; implicit-def: $sgpr52
	s_branch .LBB58_40
.LBB58_36:
	s_mov_b64 s[14:15], -1
                                        ; implicit-def: $sgpr52
.LBB58_37:
	s_andn2_b64 vcc, exec, s[14:15]
	s_cbranch_vccnz .LBB58_39
; %bb.38:
	s_mov_b32 s52, s42
.LBB58_39:
	s_mov_b64 s[14:15], 0
.LBB58_40:
	s_andn2_b64 vcc, exec, s[14:15]
	s_cbranch_vccnz .LBB58_42
; %bb.41:
	s_mov_b32 s52, s26
.LBB58_42:
	s_mov_b64 s[14:15], 0
.LBB58_43:
	s_andn2_b64 vcc, exec, s[14:15]
	s_cbranch_vccnz .LBB58_45
; %bb.44:
	s_mov_b32 s52, s16
.LBB58_45:
	s_mov_b64 s[14:15], 0
.LBB58_46:
	s_andn2_b64 vcc, exec, s[14:15]
	s_cbranch_vccnz .LBB58_48
; %bb.47:
	s_mov_b32 s52, s12
.LBB58_48:
	s_mov_b64 s[12:13], 0
.LBB58_49:
	s_andn2_b64 vcc, exec, s[12:13]
	s_cbranch_vccnz .LBB58_51
; %bb.50:
	s_mov_b32 s52, s10
.LBB58_51:
	s_mov_b64 s[10:11], 0
.LBB58_52:
	s_andn2_b64 vcc, exec, s[10:11]
	s_cbranch_vccnz .LBB58_54
; %bb.53:
	s_mov_b32 s52, s8
.LBB58_54:
	s_cbranch_execnz .LBB58_56
.LBB58_55:
	s_mov_b32 s52, s6
.LBB58_56:
	s_cbranch_execnz .LBB58_58
.LBB58_57:
	s_mov_b32 s52, s2
.LBB58_58:
	s_cbranch_execnz .LBB58_60
.LBB58_59:
	s_mov_b32 s52, s33
.LBB58_60:
	s_mov_b64 s[14:15], 0
.LBB58_61:
	s_andn2_b64 vcc, exec, s[14:15]
	s_cbranch_vccnz .LBB58_63
; %bb.62:
	s_add_i32 s52, s0, -11
.LBB58_63:
	s_load_dwordx2 s[0:1], s[4:5], 0x0
	s_cmp_gt_u32 s52, 62
	s_cselect_b64 s[2:3], -1, 0
	v_cndmask_b32_e64 v1, 0, 1, s[2:3]
	s_waitcnt lgkmcnt(0)
	global_store_byte v0, v1, s[0:1]
	s_endpgm
	.section	.rodata,"a",@progbits
	.p2align	6, 0x0
	.amdhsa_kernel _Z21device_test_warp_maskILj9EEvP10TestStatus
		.amdhsa_group_segment_fixed_size 0
		.amdhsa_private_segment_fixed_size 0
		.amdhsa_kernarg_size 8
		.amdhsa_user_sgpr_count 6
		.amdhsa_user_sgpr_private_segment_buffer 1
		.amdhsa_user_sgpr_dispatch_ptr 0
		.amdhsa_user_sgpr_queue_ptr 0
		.amdhsa_user_sgpr_kernarg_segment_ptr 1
		.amdhsa_user_sgpr_dispatch_id 0
		.amdhsa_user_sgpr_flat_scratch_init 0
		.amdhsa_user_sgpr_kernarg_preload_length 0
		.amdhsa_user_sgpr_kernarg_preload_offset 0
		.amdhsa_user_sgpr_private_segment_size 0
		.amdhsa_uses_dynamic_stack 0
		.amdhsa_system_sgpr_private_segment_wavefront_offset 0
		.amdhsa_system_sgpr_workgroup_id_x 1
		.amdhsa_system_sgpr_workgroup_id_y 0
		.amdhsa_system_sgpr_workgroup_id_z 0
		.amdhsa_system_sgpr_workgroup_info 0
		.amdhsa_system_vgpr_workitem_id 0
		.amdhsa_next_free_vgpr 2
		.amdhsa_next_free_sgpr 54
		.amdhsa_accum_offset 4
		.amdhsa_reserve_vcc 1
		.amdhsa_reserve_flat_scratch 0
		.amdhsa_float_round_mode_32 0
		.amdhsa_float_round_mode_16_64 0
		.amdhsa_float_denorm_mode_32 3
		.amdhsa_float_denorm_mode_16_64 3
		.amdhsa_dx10_clamp 1
		.amdhsa_ieee_mode 1
		.amdhsa_fp16_overflow 0
		.amdhsa_tg_split 0
		.amdhsa_exception_fp_ieee_invalid_op 0
		.amdhsa_exception_fp_denorm_src 0
		.amdhsa_exception_fp_ieee_div_zero 0
		.amdhsa_exception_fp_ieee_overflow 0
		.amdhsa_exception_fp_ieee_underflow 0
		.amdhsa_exception_fp_ieee_inexact 0
		.amdhsa_exception_int_div_zero 0
	.end_amdhsa_kernel
	.section	.text._Z21device_test_warp_maskILj9EEvP10TestStatus,"axG",@progbits,_Z21device_test_warp_maskILj9EEvP10TestStatus,comdat
.Lfunc_end58:
	.size	_Z21device_test_warp_maskILj9EEvP10TestStatus, .Lfunc_end58-_Z21device_test_warp_maskILj9EEvP10TestStatus
                                        ; -- End function
	.section	.AMDGPU.csdata,"",@progbits
; Kernel info:
; codeLenInByte = 824
; NumSgprs: 58
; NumVgprs: 2
; NumAgprs: 0
; TotalNumVgprs: 2
; ScratchSize: 0
; MemoryBound: 0
; FloatMode: 240
; IeeeMode: 1
; LDSByteSize: 0 bytes/workgroup (compile time only)
; SGPRBlocks: 7
; VGPRBlocks: 0
; NumSGPRsForWavesPerEU: 58
; NumVGPRsForWavesPerEU: 2
; AccumOffset: 4
; Occupancy: 8
; WaveLimiterHint : 0
; COMPUTE_PGM_RSRC2:SCRATCH_EN: 0
; COMPUTE_PGM_RSRC2:USER_SGPR: 6
; COMPUTE_PGM_RSRC2:TRAP_HANDLER: 0
; COMPUTE_PGM_RSRC2:TGID_X_EN: 1
; COMPUTE_PGM_RSRC2:TGID_Y_EN: 0
; COMPUTE_PGM_RSRC2:TGID_Z_EN: 0
; COMPUTE_PGM_RSRC2:TIDIG_COMP_CNT: 0
; COMPUTE_PGM_RSRC3_GFX90A:ACCUM_OFFSET: 0
; COMPUTE_PGM_RSRC3_GFX90A:TG_SPLIT: 0
	.section	.text._Z21device_test_warp_maskILj10EEvP10TestStatus,"axG",@progbits,_Z21device_test_warp_maskILj10EEvP10TestStatus,comdat
	.protected	_Z21device_test_warp_maskILj10EEvP10TestStatus ; -- Begin function _Z21device_test_warp_maskILj10EEvP10TestStatus
	.globl	_Z21device_test_warp_maskILj10EEvP10TestStatus
	.p2align	8
	.type	_Z21device_test_warp_maskILj10EEvP10TestStatus,@function
_Z21device_test_warp_maskILj10EEvP10TestStatus: ; @_Z21device_test_warp_maskILj10EEvP10TestStatus
; %bb.0:
	s_mov_b32 s45, 10
	s_mov_b64 s[38:39], 19
	s_mov_b32 s13, 0
	s_branch .LBB59_3
.LBB59_1:                               ;   in Loop: Header=BB59_3 Depth=1
	s_mov_b64 s[36:37], 0
.LBB59_2:                               ;   in Loop: Header=BB59_3 Depth=1
	s_and_b64 vcc, exec, s[42:43]
	s_cbranch_vccnz .LBB59_13
.LBB59_3:                               ; =>This Inner Loop Header: Depth=1
	s_mov_b64 s[0:1], s[38:39]
	s_add_u32 s33, s0, -8
	s_lshl_b64 s[2:3], 1, s33
	s_and_b32 s12, s2, 0x3fe
	s_cmp_lg_u64 s[12:13], 0
	s_mov_b64 s[34:35], 0
	s_mov_b64 s[36:37], 0
	;; [unrolled: 1-line block ×8, first 2 shown]
	s_mov_b64 s[18:19], -1
	s_mov_b64 s[42:43], -1
                                        ; implicit-def: $sgpr38_sgpr39
                                        ; implicit-def: $sgpr44
                                        ; implicit-def: $sgpr2_sgpr3
                                        ; implicit-def: $sgpr6_sgpr7
                                        ; implicit-def: $sgpr8_sgpr9
                                        ; implicit-def: $sgpr10_sgpr11
                                        ; implicit-def: $sgpr14_sgpr15
                                        ; implicit-def: $sgpr26_sgpr27
                                        ; implicit-def: $sgpr40_sgpr41
	s_cbranch_scc1 .LBB59_2
; %bb.4:                                ;   in Loop: Header=BB59_3 Depth=1
	s_add_u32 s2, s0, -7
	s_lshl_b64 s[6:7], 1, s2
	s_and_b32 s12, s6, 0x3fe
	s_mov_b64 s[16:17], -1
	s_mov_b64 s[18:19], 0
	s_cmp_eq_u64 s[12:13], 0
                                        ; implicit-def: $sgpr38_sgpr39
                                        ; implicit-def: $sgpr44
                                        ; implicit-def: $sgpr6_sgpr7
                                        ; implicit-def: $sgpr8_sgpr9
                                        ; implicit-def: $sgpr10_sgpr11
                                        ; implicit-def: $sgpr14_sgpr15
                                        ; implicit-def: $sgpr26_sgpr27
                                        ; implicit-def: $sgpr40_sgpr41
	s_cbranch_scc0 .LBB59_2
; %bb.5:                                ;   in Loop: Header=BB59_3 Depth=1
	s_add_u32 s6, s0, -6
	s_lshl_b64 s[8:9], 1, s6
	s_and_b32 s12, s8, 0x3fe
	s_mov_b64 s[20:21], -1
	s_mov_b64 s[16:17], 0
	s_cmp_eq_u64 s[12:13], 0
                                        ; implicit-def: $sgpr38_sgpr39
                                        ; implicit-def: $sgpr44
                                        ; implicit-def: $sgpr8_sgpr9
                                        ; implicit-def: $sgpr10_sgpr11
                                        ; implicit-def: $sgpr14_sgpr15
                                        ; implicit-def: $sgpr26_sgpr27
                                        ; implicit-def: $sgpr40_sgpr41
	s_cbranch_scc0 .LBB59_2
; %bb.6:                                ;   in Loop: Header=BB59_3 Depth=1
	s_add_u32 s8, s0, -5
	s_lshl_b64 s[10:11], 1, s8
	s_and_b32 s12, s10, 0x3fe
	s_mov_b64 s[22:23], -1
	s_mov_b64 s[20:21], 0
	s_cmp_eq_u64 s[12:13], 0
                                        ; implicit-def: $sgpr38_sgpr39
                                        ; implicit-def: $sgpr44
                                        ; implicit-def: $sgpr10_sgpr11
                                        ; implicit-def: $sgpr14_sgpr15
                                        ; implicit-def: $sgpr26_sgpr27
                                        ; implicit-def: $sgpr40_sgpr41
	s_cbranch_scc0 .LBB59_2
; %bb.7:                                ;   in Loop: Header=BB59_3 Depth=1
	s_add_u32 s10, s0, -4
	s_lshl_b64 s[14:15], 1, s10
	s_and_b32 s12, s14, 0x3fe
	s_mov_b64 s[24:25], -1
	s_mov_b64 s[22:23], 0
	s_cmp_eq_u64 s[12:13], 0
                                        ; implicit-def: $sgpr38_sgpr39
                                        ; implicit-def: $sgpr44
                                        ; implicit-def: $sgpr14_sgpr15
                                        ; implicit-def: $sgpr26_sgpr27
                                        ; implicit-def: $sgpr40_sgpr41
	s_cbranch_scc0 .LBB59_2
; %bb.8:                                ;   in Loop: Header=BB59_3 Depth=1
	s_add_u32 s14, s0, -3
	s_lshl_b64 s[24:25], 1, s14
	s_and_b32 s12, s24, 0x3fe
	s_mov_b64 s[28:29], -1
	s_mov_b64 s[24:25], 0
	s_cmp_eq_u64 s[12:13], 0
                                        ; implicit-def: $sgpr38_sgpr39
                                        ; implicit-def: $sgpr44
                                        ; implicit-def: $sgpr26_sgpr27
                                        ; implicit-def: $sgpr40_sgpr41
	s_cbranch_scc0 .LBB59_2
; %bb.9:                                ;   in Loop: Header=BB59_3 Depth=1
	s_add_u32 s26, s0, -2
	s_lshl_b64 s[28:29], 1, s26
	s_and_b32 s12, s28, 0x3fe
	s_mov_b64 s[30:31], -1
	s_mov_b64 s[28:29], 0
	s_cmp_eq_u64 s[12:13], 0
                                        ; implicit-def: $sgpr38_sgpr39
                                        ; implicit-def: $sgpr44
                                        ; implicit-def: $sgpr40_sgpr41
	s_cbranch_scc0 .LBB59_2
; %bb.10:                               ;   in Loop: Header=BB59_3 Depth=1
	s_add_u32 s40, s0, -1
	s_lshl_b64 s[30:31], 1, s40
	s_and_b32 s12, s30, 0x3fe
	s_mov_b64 s[36:37], -1
	s_mov_b64 s[30:31], 0
	s_cmp_eq_u64 s[12:13], 0
                                        ; implicit-def: $sgpr38_sgpr39
                                        ; implicit-def: $sgpr44
	s_cbranch_scc0 .LBB59_2
; %bb.11:                               ;   in Loop: Header=BB59_3 Depth=1
	s_mov_b64 s[34:35], -1
	s_cmp_lg_u32 s0, 64
                                        ; implicit-def: $sgpr38_sgpr39
                                        ; implicit-def: $sgpr44
	s_cbranch_scc0 .LBB59_1
; %bb.12:                               ;   in Loop: Header=BB59_3 Depth=1
	s_lshl_b64 s[34:35], 1, s0
	s_add_i32 s44, s45, 8
	s_and_b32 s12, s34, 0x3fe
	s_cmp_lg_u64 s[12:13], 0
	s_cselect_b64 s[42:43], -1, 0
	s_add_u32 s38, s0, 9
	s_addc_u32 s39, s1, 0
	s_add_i32 s45, s45, 9
	s_mov_b64 s[34:35], 0
	s_branch .LBB59_1
.LBB59_13:
	s_mov_b64 s[12:13], -1
	s_and_b64 vcc, exec, s[18:19]
	s_cbranch_vccnz .LBB59_49
; %bb.14:
	s_xor_b64 s[12:13], s[16:17], -1
	s_andn2_b64 vcc, exec, s[12:13]
	s_cbranch_vccnz .LBB59_24
; %bb.15:
	s_xor_b64 s[12:13], s[20:21], -1
	s_andn2_b64 vcc, exec, s[12:13]
	;; [unrolled: 4-line block ×7, first 2 shown]
	s_cbranch_vccnz .LBB59_30
; %bb.21:
	s_and_b64 vcc, exec, s[34:35]
	s_cbranch_vccz .LBB59_23
; %bb.22:
	s_mov_b32 s44, s40
.LBB59_23:
	s_mov_b64 s[12:13], 0
	s_branch .LBB59_31
.LBB59_24:
                                        ; implicit-def: $sgpr44
	s_branch .LBB59_47
.LBB59_25:
                                        ; implicit-def: $sgpr44
	s_branch .LBB59_45
.LBB59_26:
                                        ; implicit-def: $sgpr44
	s_branch .LBB59_43
.LBB59_27:
	s_mov_b64 s[10:11], -1
                                        ; implicit-def: $sgpr44
	s_branch .LBB59_40
.LBB59_28:
	s_mov_b64 s[12:13], -1
                                        ; implicit-def: $sgpr44
	s_branch .LBB59_37
.LBB59_29:
	s_mov_b64 s[12:13], -1
                                        ; implicit-def: $sgpr44
	s_branch .LBB59_34
.LBB59_30:
	s_mov_b64 s[12:13], -1
                                        ; implicit-def: $sgpr44
.LBB59_31:
	s_andn2_b64 vcc, exec, s[12:13]
	s_cbranch_vccnz .LBB59_33
; %bb.32:
	s_mov_b32 s44, s26
.LBB59_33:
	s_mov_b64 s[12:13], 0
.LBB59_34:
	s_andn2_b64 vcc, exec, s[12:13]
	s_cbranch_vccnz .LBB59_36
; %bb.35:
	s_mov_b32 s44, s14
.LBB59_36:
	s_mov_b64 s[12:13], 0
.LBB59_37:
	s_andn2_b64 vcc, exec, s[12:13]
	s_cbranch_vccnz .LBB59_39
; %bb.38:
	s_mov_b32 s44, s10
.LBB59_39:
	s_mov_b64 s[10:11], 0
.LBB59_40:
	s_andn2_b64 vcc, exec, s[10:11]
	s_cbranch_vccnz .LBB59_42
; %bb.41:
	s_mov_b32 s44, s8
.LBB59_42:
	s_cbranch_execnz .LBB59_44
.LBB59_43:
	s_mov_b32 s44, s6
.LBB59_44:
	s_cbranch_execnz .LBB59_46
.LBB59_45:
	s_mov_b32 s44, s2
.LBB59_46:
	s_cbranch_execnz .LBB59_48
.LBB59_47:
	s_mov_b32 s44, s33
.LBB59_48:
	s_mov_b64 s[12:13], 0
.LBB59_49:
	s_andn2_b64 vcc, exec, s[12:13]
	s_cbranch_vccnz .LBB59_51
; %bb.50:
	s_add_i32 s44, s0, -9
.LBB59_51:
	s_load_dwordx2 s[0:1], s[4:5], 0x0
	s_cmp_gt_u32 s44, 62
	s_cselect_b64 s[2:3], -1, 0
	v_cndmask_b32_e64 v1, 0, 1, s[2:3]
	s_waitcnt lgkmcnt(0)
	global_store_byte v0, v1, s[0:1]
	s_endpgm
	.section	.rodata,"a",@progbits
	.p2align	6, 0x0
	.amdhsa_kernel _Z21device_test_warp_maskILj10EEvP10TestStatus
		.amdhsa_group_segment_fixed_size 0
		.amdhsa_private_segment_fixed_size 0
		.amdhsa_kernarg_size 8
		.amdhsa_user_sgpr_count 6
		.amdhsa_user_sgpr_private_segment_buffer 1
		.amdhsa_user_sgpr_dispatch_ptr 0
		.amdhsa_user_sgpr_queue_ptr 0
		.amdhsa_user_sgpr_kernarg_segment_ptr 1
		.amdhsa_user_sgpr_dispatch_id 0
		.amdhsa_user_sgpr_flat_scratch_init 0
		.amdhsa_user_sgpr_kernarg_preload_length 0
		.amdhsa_user_sgpr_kernarg_preload_offset 0
		.amdhsa_user_sgpr_private_segment_size 0
		.amdhsa_uses_dynamic_stack 0
		.amdhsa_system_sgpr_private_segment_wavefront_offset 0
		.amdhsa_system_sgpr_workgroup_id_x 1
		.amdhsa_system_sgpr_workgroup_id_y 0
		.amdhsa_system_sgpr_workgroup_id_z 0
		.amdhsa_system_sgpr_workgroup_info 0
		.amdhsa_system_vgpr_workitem_id 0
		.amdhsa_next_free_vgpr 2
		.amdhsa_next_free_sgpr 46
		.amdhsa_accum_offset 4
		.amdhsa_reserve_vcc 1
		.amdhsa_reserve_flat_scratch 0
		.amdhsa_float_round_mode_32 0
		.amdhsa_float_round_mode_16_64 0
		.amdhsa_float_denorm_mode_32 3
		.amdhsa_float_denorm_mode_16_64 3
		.amdhsa_dx10_clamp 1
		.amdhsa_ieee_mode 1
		.amdhsa_fp16_overflow 0
		.amdhsa_tg_split 0
		.amdhsa_exception_fp_ieee_invalid_op 0
		.amdhsa_exception_fp_denorm_src 0
		.amdhsa_exception_fp_ieee_div_zero 0
		.amdhsa_exception_fp_ieee_overflow 0
		.amdhsa_exception_fp_ieee_underflow 0
		.amdhsa_exception_fp_ieee_inexact 0
		.amdhsa_exception_int_div_zero 0
	.end_amdhsa_kernel
	.section	.text._Z21device_test_warp_maskILj10EEvP10TestStatus,"axG",@progbits,_Z21device_test_warp_maskILj10EEvP10TestStatus,comdat
.Lfunc_end59:
	.size	_Z21device_test_warp_maskILj10EEvP10TestStatus, .Lfunc_end59-_Z21device_test_warp_maskILj10EEvP10TestStatus
                                        ; -- End function
	.section	.AMDGPU.csdata,"",@progbits
; Kernel info:
; codeLenInByte = 672
; NumSgprs: 50
; NumVgprs: 2
; NumAgprs: 0
; TotalNumVgprs: 2
; ScratchSize: 0
; MemoryBound: 0
; FloatMode: 240
; IeeeMode: 1
; LDSByteSize: 0 bytes/workgroup (compile time only)
; SGPRBlocks: 6
; VGPRBlocks: 0
; NumSGPRsForWavesPerEU: 50
; NumVGPRsForWavesPerEU: 2
; AccumOffset: 4
; Occupancy: 8
; WaveLimiterHint : 0
; COMPUTE_PGM_RSRC2:SCRATCH_EN: 0
; COMPUTE_PGM_RSRC2:USER_SGPR: 6
; COMPUTE_PGM_RSRC2:TRAP_HANDLER: 0
; COMPUTE_PGM_RSRC2:TGID_X_EN: 1
; COMPUTE_PGM_RSRC2:TGID_Y_EN: 0
; COMPUTE_PGM_RSRC2:TGID_Z_EN: 0
; COMPUTE_PGM_RSRC2:TIDIG_COMP_CNT: 0
; COMPUTE_PGM_RSRC3_GFX90A:ACCUM_OFFSET: 0
; COMPUTE_PGM_RSRC3_GFX90A:TG_SPLIT: 0
	.section	.text._Z21device_test_warp_maskILj11EEvP10TestStatus,"axG",@progbits,_Z21device_test_warp_maskILj11EEvP10TestStatus,comdat
	.protected	_Z21device_test_warp_maskILj11EEvP10TestStatus ; -- Begin function _Z21device_test_warp_maskILj11EEvP10TestStatus
	.globl	_Z21device_test_warp_maskILj11EEvP10TestStatus
	.p2align	8
	.type	_Z21device_test_warp_maskILj11EEvP10TestStatus,@function
_Z21device_test_warp_maskILj11EEvP10TestStatus: ; @_Z21device_test_warp_maskILj11EEvP10TestStatus
; %bb.0:
	s_mov_b32 s38, 11
	s_mov_b64 s[20:21], 19
	s_mov_b32 s11, 0
	s_branch .LBB60_3
.LBB60_1:                               ;   in Loop: Header=BB60_3 Depth=1
	s_add_i32 s39, s38, 4
	s_mov_b64 s[26:27], -1
                                        ; implicit-def: $sgpr38
                                        ; implicit-def: $sgpr20_sgpr21
                                        ; implicit-def: $sgpr12_sgpr13
                                        ; implicit-def: $sgpr24_sgpr25
.LBB60_2:                               ;   in Loop: Header=BB60_3 Depth=1
	s_and_b64 vcc, exec, s[36:37]
	s_cbranch_vccnz .LBB60_14
.LBB60_3:                               ; =>This Inner Loop Header: Depth=1
	s_mov_b64 s[0:1], s[20:21]
	s_add_u32 s33, s0, -7
	s_lshl_b64 s[2:3], 1, s33
	s_and_b32 s10, s2, 0x7fe
	s_mov_b64 s[14:15], -1
	s_cmp_lg_u64 s[10:11], 0
	s_mov_b64 s[30:31], 0
	s_mov_b64 s[34:35], 0
	;; [unrolled: 1-line block ×7, first 2 shown]
	s_mov_b64 s[36:37], -1
                                        ; implicit-def: $sgpr20_sgpr21
                                        ; implicit-def: $sgpr39
                                        ; implicit-def: $sgpr2_sgpr3
                                        ; implicit-def: $sgpr6_sgpr7
                                        ; implicit-def: $sgpr8_sgpr9
                                        ; implicit-def: $sgpr12_sgpr13
                                        ; implicit-def: $sgpr24_sgpr25
	s_cbranch_scc1 .LBB60_2
; %bb.4:                                ;   in Loop: Header=BB60_3 Depth=1
	s_add_u32 s2, s0, -6
	s_lshl_b64 s[6:7], 1, s2
	s_and_b32 s10, s6, 0x7fe
	s_mov_b64 s[16:17], -1
	s_mov_b64 s[14:15], 0
	s_cmp_eq_u64 s[10:11], 0
                                        ; implicit-def: $sgpr20_sgpr21
                                        ; implicit-def: $sgpr39
                                        ; implicit-def: $sgpr6_sgpr7
                                        ; implicit-def: $sgpr8_sgpr9
                                        ; implicit-def: $sgpr12_sgpr13
                                        ; implicit-def: $sgpr24_sgpr25
	s_cbranch_scc0 .LBB60_2
; %bb.5:                                ;   in Loop: Header=BB60_3 Depth=1
	s_add_u32 s6, s0, -5
	s_lshl_b64 s[8:9], 1, s6
	s_and_b32 s10, s8, 0x7fe
	s_mov_b64 s[18:19], -1
	s_mov_b64 s[16:17], 0
	s_cmp_eq_u64 s[10:11], 0
                                        ; implicit-def: $sgpr20_sgpr21
                                        ; implicit-def: $sgpr39
                                        ; implicit-def: $sgpr8_sgpr9
                                        ; implicit-def: $sgpr12_sgpr13
                                        ; implicit-def: $sgpr24_sgpr25
	s_cbranch_scc0 .LBB60_2
; %bb.6:                                ;   in Loop: Header=BB60_3 Depth=1
	s_add_u32 s8, s0, -4
	s_lshl_b64 s[12:13], 1, s8
	s_and_b32 s10, s12, 0x7fe
	s_mov_b64 s[22:23], -1
	s_mov_b64 s[18:19], 0
	s_cmp_eq_u64 s[10:11], 0
                                        ; implicit-def: $sgpr20_sgpr21
                                        ; implicit-def: $sgpr39
                                        ; implicit-def: $sgpr12_sgpr13
                                        ; implicit-def: $sgpr24_sgpr25
	s_cbranch_scc0 .LBB60_2
; %bb.7:                                ;   in Loop: Header=BB60_3 Depth=1
	s_cmpk_lg_i32 s0, 0x43
	s_mov_b64 s[22:23], 0
	s_cbranch_scc0 .LBB60_1
; %bb.8:                                ;   in Loop: Header=BB60_3 Depth=1
	s_add_u32 s12, s0, -3
	s_lshl_b64 s[20:21], 1, s12
	s_and_b32 s10, s20, 0x7fe
	s_mov_b64 s[28:29], -1
	s_cmp_eq_u64 s[10:11], 0
                                        ; implicit-def: $sgpr20_sgpr21
                                        ; implicit-def: $sgpr24_sgpr25
	s_cbranch_scc0 .LBB60_10
; %bb.9:                                ;   in Loop: Header=BB60_3 Depth=1
	s_add_u32 s24, s0, -2
	s_lshl_b64 s[20:21], 1, s24
	s_and_b32 s10, s20, 0x7fe
	s_mov_b64 s[34:35], -1
	s_mov_b64 s[28:29], 0
	s_cmp_eq_u64 s[10:11], 0
                                        ; implicit-def: $sgpr20_sgpr21
	s_cbranch_scc1 .LBB60_11
.LBB60_10:                              ;   in Loop: Header=BB60_3 Depth=1
                                        ; implicit-def: $sgpr39
	s_branch .LBB60_2
.LBB60_11:                              ;   in Loop: Header=BB60_3 Depth=1
	s_add_i32 s3, s0, -1
	s_lshl_b64 s[20:21], 1, s3
	s_and_b32 s10, s20, 0x7fe
	s_mov_b64 s[30:31], -1
	s_cmp_eq_u64 s[10:11], 0
                                        ; implicit-def: $sgpr20_sgpr21
	s_cbranch_scc1 .LBB60_13
; %bb.12:                               ;   in Loop: Header=BB60_3 Depth=1
	s_mov_b64 s[34:35], 0
                                        ; implicit-def: $sgpr39
	s_branch .LBB60_2
.LBB60_13:                              ;   in Loop: Header=BB60_3 Depth=1
	s_lshl_b64 s[20:21], 1, s0
	s_add_i32 s38, s38, 8
	s_and_b32 s10, s20, 0x7fe
	s_cmp_lg_u64 s[10:11], 0
	s_cselect_b64 s[36:37], -1, 0
	s_add_u32 s20, s0, 8
	s_addc_u32 s21, s1, 0
	s_mov_b64 s[30:31], 0
	s_mov_b64 s[34:35], 0
                                        ; implicit-def: $sgpr39
	s_branch .LBB60_2
.LBB60_14:
	s_mov_b64 s[10:11], -1
	s_and_b64 vcc, exec, s[14:15]
	s_cbranch_vccnz .LBB60_44
; %bb.15:
	s_xor_b64 s[10:11], s[16:17], -1
	s_andn2_b64 vcc, exec, s[10:11]
	s_cbranch_vccnz .LBB60_23
; %bb.16:
	s_xor_b64 s[10:11], s[18:19], -1
	s_andn2_b64 vcc, exec, s[10:11]
	;; [unrolled: 4-line block ×6, first 2 shown]
	s_cbranch_vccnz .LBB60_27
; %bb.21:
	s_xor_b64 s[10:11], s[30:31], -1
	s_and_b64 vcc, exec, s[10:11]
	s_cbranch_vccz .LBB60_28
; %bb.22:
	s_add_i32 s39, s20, -9
	s_mov_b64 s[10:11], 0
	s_branch .LBB60_29
.LBB60_23:
                                        ; implicit-def: $sgpr39
	s_branch .LBB60_42
.LBB60_24:
                                        ; implicit-def: $sgpr39
	s_branch .LBB60_40
.LBB60_25:
                                        ; implicit-def: $sgpr39
	s_branch .LBB60_38
.LBB60_26:
	s_mov_b64 s[10:11], -1
                                        ; implicit-def: $sgpr39
	s_branch .LBB60_35
.LBB60_27:
	s_mov_b64 s[10:11], -1
                                        ; implicit-def: $sgpr39
	s_branch .LBB60_32
.LBB60_28:
	s_mov_b64 s[10:11], -1
                                        ; implicit-def: $sgpr39
.LBB60_29:
	s_andn2_b64 vcc, exec, s[10:11]
	s_cbranch_vccnz .LBB60_31
; %bb.30:
	s_mov_b32 s39, s24
.LBB60_31:
	s_mov_b64 s[10:11], 0
.LBB60_32:
	s_andn2_b64 vcc, exec, s[10:11]
	s_cbranch_vccnz .LBB60_34
; %bb.33:
	s_mov_b32 s39, s12
.LBB60_34:
	s_mov_b64 s[10:11], 0
.LBB60_35:
	s_andn2_b64 vcc, exec, s[10:11]
	s_cbranch_vccnz .LBB60_37
; %bb.36:
	s_mov_b32 s39, s8
.LBB60_37:
	s_cbranch_execnz .LBB60_39
.LBB60_38:
	s_mov_b32 s39, s6
.LBB60_39:
	s_cbranch_execnz .LBB60_41
.LBB60_40:
	s_mov_b32 s39, s2
.LBB60_41:
	s_cbranch_execnz .LBB60_43
.LBB60_42:
	s_mov_b32 s39, s33
.LBB60_43:
	s_mov_b64 s[10:11], 0
.LBB60_44:
	s_andn2_b64 vcc, exec, s[10:11]
	s_cbranch_vccnz .LBB60_46
; %bb.45:
	s_add_i32 s39, s0, -8
.LBB60_46:
	s_load_dwordx2 s[0:1], s[4:5], 0x0
	s_cmp_gt_u32 s39, 62
	s_cselect_b64 s[2:3], -1, 0
	v_cndmask_b32_e64 v1, 0, 1, s[2:3]
	s_waitcnt lgkmcnt(0)
	global_store_byte v0, v1, s[0:1]
	s_endpgm
	.section	.rodata,"a",@progbits
	.p2align	6, 0x0
	.amdhsa_kernel _Z21device_test_warp_maskILj11EEvP10TestStatus
		.amdhsa_group_segment_fixed_size 0
		.amdhsa_private_segment_fixed_size 0
		.amdhsa_kernarg_size 8
		.amdhsa_user_sgpr_count 6
		.amdhsa_user_sgpr_private_segment_buffer 1
		.amdhsa_user_sgpr_dispatch_ptr 0
		.amdhsa_user_sgpr_queue_ptr 0
		.amdhsa_user_sgpr_kernarg_segment_ptr 1
		.amdhsa_user_sgpr_dispatch_id 0
		.amdhsa_user_sgpr_flat_scratch_init 0
		.amdhsa_user_sgpr_kernarg_preload_length 0
		.amdhsa_user_sgpr_kernarg_preload_offset 0
		.amdhsa_user_sgpr_private_segment_size 0
		.amdhsa_uses_dynamic_stack 0
		.amdhsa_system_sgpr_private_segment_wavefront_offset 0
		.amdhsa_system_sgpr_workgroup_id_x 1
		.amdhsa_system_sgpr_workgroup_id_y 0
		.amdhsa_system_sgpr_workgroup_id_z 0
		.amdhsa_system_sgpr_workgroup_info 0
		.amdhsa_system_vgpr_workitem_id 0
		.amdhsa_next_free_vgpr 2
		.amdhsa_next_free_sgpr 40
		.amdhsa_accum_offset 4
		.amdhsa_reserve_vcc 1
		.amdhsa_reserve_flat_scratch 0
		.amdhsa_float_round_mode_32 0
		.amdhsa_float_round_mode_16_64 0
		.amdhsa_float_denorm_mode_32 3
		.amdhsa_float_denorm_mode_16_64 3
		.amdhsa_dx10_clamp 1
		.amdhsa_ieee_mode 1
		.amdhsa_fp16_overflow 0
		.amdhsa_tg_split 0
		.amdhsa_exception_fp_ieee_invalid_op 0
		.amdhsa_exception_fp_denorm_src 0
		.amdhsa_exception_fp_ieee_div_zero 0
		.amdhsa_exception_fp_ieee_overflow 0
		.amdhsa_exception_fp_ieee_underflow 0
		.amdhsa_exception_fp_ieee_inexact 0
		.amdhsa_exception_int_div_zero 0
	.end_amdhsa_kernel
	.section	.text._Z21device_test_warp_maskILj11EEvP10TestStatus,"axG",@progbits,_Z21device_test_warp_maskILj11EEvP10TestStatus,comdat
.Lfunc_end60:
	.size	_Z21device_test_warp_maskILj11EEvP10TestStatus, .Lfunc_end60-_Z21device_test_warp_maskILj11EEvP10TestStatus
                                        ; -- End function
	.section	.AMDGPU.csdata,"",@progbits
; Kernel info:
; codeLenInByte = 612
; NumSgprs: 44
; NumVgprs: 2
; NumAgprs: 0
; TotalNumVgprs: 2
; ScratchSize: 0
; MemoryBound: 0
; FloatMode: 240
; IeeeMode: 1
; LDSByteSize: 0 bytes/workgroup (compile time only)
; SGPRBlocks: 5
; VGPRBlocks: 0
; NumSGPRsForWavesPerEU: 44
; NumVGPRsForWavesPerEU: 2
; AccumOffset: 4
; Occupancy: 8
; WaveLimiterHint : 0
; COMPUTE_PGM_RSRC2:SCRATCH_EN: 0
; COMPUTE_PGM_RSRC2:USER_SGPR: 6
; COMPUTE_PGM_RSRC2:TRAP_HANDLER: 0
; COMPUTE_PGM_RSRC2:TGID_X_EN: 1
; COMPUTE_PGM_RSRC2:TGID_Y_EN: 0
; COMPUTE_PGM_RSRC2:TGID_Z_EN: 0
; COMPUTE_PGM_RSRC2:TIDIG_COMP_CNT: 0
; COMPUTE_PGM_RSRC3_GFX90A:ACCUM_OFFSET: 0
; COMPUTE_PGM_RSRC3_GFX90A:TG_SPLIT: 0
	.section	.text._Z21device_test_warp_maskILj12EEvP10TestStatus,"axG",@progbits,_Z21device_test_warp_maskILj12EEvP10TestStatus,comdat
	.protected	_Z21device_test_warp_maskILj12EEvP10TestStatus ; -- Begin function _Z21device_test_warp_maskILj12EEvP10TestStatus
	.globl	_Z21device_test_warp_maskILj12EEvP10TestStatus
	.p2align	8
	.type	_Z21device_test_warp_maskILj12EEvP10TestStatus,@function
_Z21device_test_warp_maskILj12EEvP10TestStatus: ; @_Z21device_test_warp_maskILj12EEvP10TestStatus
; %bb.0:
	s_mov_b32 s61, 12
	s_mov_b64 s[52:53], 25
	s_mov_b32 s17, 0
	s_branch .LBB61_3
.LBB61_1:                               ;   in Loop: Header=BB61_3 Depth=1
	s_mov_b64 s[50:51], 0
.LBB61_2:                               ;   in Loop: Header=BB61_3 Depth=1
	s_and_b64 vcc, exec, s[58:59]
	s_cbranch_vccnz .LBB61_17
.LBB61_3:                               ; =>This Inner Loop Header: Depth=1
	s_mov_b64 s[0:1], s[52:53]
	s_add_u32 s33, s0, -12
	s_lshl_b64 s[2:3], 1, s33
	s_and_b32 s16, s2, 0xffe
	s_cmp_lg_u64 s[16:17], 0
	s_mov_b64 s[38:39], 0
	s_mov_b64 s[50:51], 0
	;; [unrolled: 1-line block ×12, first 2 shown]
	s_mov_b64 s[22:23], -1
	s_mov_b64 s[58:59], -1
                                        ; implicit-def: $sgpr52_sgpr53
                                        ; implicit-def: $sgpr60
                                        ; implicit-def: $sgpr2_sgpr3
                                        ; implicit-def: $sgpr6_sgpr7
                                        ; implicit-def: $sgpr8_sgpr9
                                        ; implicit-def: $sgpr10_sgpr11
                                        ; implicit-def: $sgpr12_sgpr13
                                        ; implicit-def: $sgpr14_sgpr15
                                        ; implicit-def: $sgpr18_sgpr19
                                        ; implicit-def: $sgpr26_sgpr27
                                        ; implicit-def: $sgpr48_sgpr49
                                        ; implicit-def: $sgpr54_sgpr55
                                        ; implicit-def: $sgpr56_sgpr57
	s_cbranch_scc1 .LBB61_2
; %bb.4:                                ;   in Loop: Header=BB61_3 Depth=1
	s_add_u32 s2, s0, -11
	s_lshl_b64 s[6:7], 1, s2
	s_and_b32 s16, s6, 0xffe
	s_mov_b64 s[20:21], -1
	s_mov_b64 s[22:23], 0
	s_cmp_eq_u64 s[16:17], 0
                                        ; implicit-def: $sgpr52_sgpr53
                                        ; implicit-def: $sgpr60
                                        ; implicit-def: $sgpr6_sgpr7
                                        ; implicit-def: $sgpr8_sgpr9
                                        ; implicit-def: $sgpr10_sgpr11
                                        ; implicit-def: $sgpr12_sgpr13
                                        ; implicit-def: $sgpr14_sgpr15
                                        ; implicit-def: $sgpr18_sgpr19
                                        ; implicit-def: $sgpr26_sgpr27
                                        ; implicit-def: $sgpr48_sgpr49
                                        ; implicit-def: $sgpr54_sgpr55
                                        ; implicit-def: $sgpr56_sgpr57
	s_cbranch_scc0 .LBB61_2
; %bb.5:                                ;   in Loop: Header=BB61_3 Depth=1
	s_add_u32 s6, s0, -10
	s_lshl_b64 s[8:9], 1, s6
	s_and_b32 s16, s8, 0xffe
	s_mov_b64 s[24:25], -1
	s_mov_b64 s[20:21], 0
	s_cmp_eq_u64 s[16:17], 0
                                        ; implicit-def: $sgpr52_sgpr53
                                        ; implicit-def: $sgpr60
                                        ; implicit-def: $sgpr8_sgpr9
                                        ; implicit-def: $sgpr10_sgpr11
                                        ; implicit-def: $sgpr12_sgpr13
                                        ; implicit-def: $sgpr14_sgpr15
                                        ; implicit-def: $sgpr18_sgpr19
                                        ; implicit-def: $sgpr26_sgpr27
                                        ; implicit-def: $sgpr48_sgpr49
                                        ; implicit-def: $sgpr54_sgpr55
                                        ; implicit-def: $sgpr56_sgpr57
	s_cbranch_scc0 .LBB61_2
; %bb.6:                                ;   in Loop: Header=BB61_3 Depth=1
	s_add_u32 s8, s0, -9
	s_lshl_b64 s[10:11], 1, s8
	s_and_b32 s16, s10, 0xffe
	s_mov_b64 s[28:29], -1
	s_mov_b64 s[24:25], 0
	s_cmp_eq_u64 s[16:17], 0
                                        ; implicit-def: $sgpr52_sgpr53
                                        ; implicit-def: $sgpr60
                                        ; implicit-def: $sgpr10_sgpr11
                                        ; implicit-def: $sgpr12_sgpr13
                                        ; implicit-def: $sgpr14_sgpr15
                                        ; implicit-def: $sgpr18_sgpr19
                                        ; implicit-def: $sgpr26_sgpr27
                                        ; implicit-def: $sgpr48_sgpr49
                                        ; implicit-def: $sgpr54_sgpr55
                                        ; implicit-def: $sgpr56_sgpr57
	s_cbranch_scc0 .LBB61_2
; %bb.7:                                ;   in Loop: Header=BB61_3 Depth=1
	s_add_u32 s10, s0, -8
	s_lshl_b64 s[12:13], 1, s10
	s_and_b32 s16, s12, 0xffe
	s_mov_b64 s[30:31], -1
	s_mov_b64 s[28:29], 0
	s_cmp_eq_u64 s[16:17], 0
                                        ; implicit-def: $sgpr52_sgpr53
                                        ; implicit-def: $sgpr60
                                        ; implicit-def: $sgpr12_sgpr13
                                        ; implicit-def: $sgpr14_sgpr15
                                        ; implicit-def: $sgpr18_sgpr19
                                        ; implicit-def: $sgpr26_sgpr27
                                        ; implicit-def: $sgpr48_sgpr49
                                        ; implicit-def: $sgpr54_sgpr55
                                        ; implicit-def: $sgpr56_sgpr57
	s_cbranch_scc0 .LBB61_2
; %bb.8:                                ;   in Loop: Header=BB61_3 Depth=1
	s_add_u32 s12, s0, -7
	s_lshl_b64 s[14:15], 1, s12
	s_and_b32 s16, s14, 0xffe
	s_mov_b64 s[34:35], -1
	s_mov_b64 s[30:31], 0
	s_cmp_eq_u64 s[16:17], 0
                                        ; implicit-def: $sgpr52_sgpr53
                                        ; implicit-def: $sgpr60
                                        ; implicit-def: $sgpr14_sgpr15
                                        ; implicit-def: $sgpr18_sgpr19
                                        ; implicit-def: $sgpr26_sgpr27
                                        ; implicit-def: $sgpr48_sgpr49
                                        ; implicit-def: $sgpr54_sgpr55
                                        ; implicit-def: $sgpr56_sgpr57
	s_cbranch_scc0 .LBB61_2
; %bb.9:                                ;   in Loop: Header=BB61_3 Depth=1
	s_add_u32 s14, s0, -6
	s_lshl_b64 s[18:19], 1, s14
	s_and_b32 s16, s18, 0xffe
	s_mov_b64 s[36:37], -1
	s_mov_b64 s[34:35], 0
	s_cmp_eq_u64 s[16:17], 0
                                        ; implicit-def: $sgpr52_sgpr53
                                        ; implicit-def: $sgpr60
                                        ; implicit-def: $sgpr18_sgpr19
                                        ; implicit-def: $sgpr26_sgpr27
                                        ; implicit-def: $sgpr48_sgpr49
                                        ; implicit-def: $sgpr54_sgpr55
                                        ; implicit-def: $sgpr56_sgpr57
	s_cbranch_scc0 .LBB61_2
; %bb.10:                               ;   in Loop: Header=BB61_3 Depth=1
	s_add_u32 s18, s0, -5
	s_lshl_b64 s[26:27], 1, s18
	s_and_b32 s16, s26, 0xffe
	s_mov_b64 s[40:41], -1
	s_mov_b64 s[36:37], 0
	s_cmp_eq_u64 s[16:17], 0
                                        ; implicit-def: $sgpr52_sgpr53
                                        ; implicit-def: $sgpr60
                                        ; implicit-def: $sgpr26_sgpr27
                                        ; implicit-def: $sgpr48_sgpr49
                                        ; implicit-def: $sgpr54_sgpr55
                                        ; implicit-def: $sgpr56_sgpr57
	s_cbranch_scc0 .LBB61_2
; %bb.11:                               ;   in Loop: Header=BB61_3 Depth=1
	s_add_u32 s26, s0, -4
	s_lshl_b64 s[38:39], 1, s26
	s_and_b32 s16, s38, 0xffe
	s_mov_b64 s[42:43], -1
	s_mov_b64 s[40:41], 0
	s_cmp_eq_u64 s[16:17], 0
	s_mov_b64 s[38:39], 0
                                        ; implicit-def: $sgpr52_sgpr53
                                        ; implicit-def: $sgpr60
                                        ; implicit-def: $sgpr48_sgpr49
                                        ; implicit-def: $sgpr54_sgpr55
                                        ; implicit-def: $sgpr56_sgpr57
	s_cbranch_scc0 .LBB61_2
; %bb.12:                               ;   in Loop: Header=BB61_3 Depth=1
	s_add_u32 s48, s0, -3
	s_lshl_b64 s[38:39], 1, s48
	s_and_b32 s16, s38, 0xffe
	s_mov_b64 s[46:47], -1
	s_mov_b64 s[42:43], 0
	s_cmp_eq_u64 s[16:17], 0
	s_mov_b64 s[38:39], 0
                                        ; implicit-def: $sgpr52_sgpr53
                                        ; implicit-def: $sgpr60
                                        ; implicit-def: $sgpr54_sgpr55
                                        ; implicit-def: $sgpr56_sgpr57
	s_cbranch_scc0 .LBB61_2
; %bb.13:                               ;   in Loop: Header=BB61_3 Depth=1
	s_add_u32 s54, s0, -2
	s_lshl_b64 s[38:39], 1, s54
	s_and_b32 s16, s38, 0xffe
	s_mov_b64 s[44:45], -1
	s_mov_b64 s[46:47], 0
	s_cmp_eq_u64 s[16:17], 0
	s_mov_b64 s[38:39], 0
                                        ; implicit-def: $sgpr52_sgpr53
                                        ; implicit-def: $sgpr60
                                        ; implicit-def: $sgpr56_sgpr57
	s_cbranch_scc0 .LBB61_2
; %bb.14:                               ;   in Loop: Header=BB61_3 Depth=1
	s_add_u32 s56, s0, -1
	s_lshl_b64 s[38:39], 1, s56
	s_and_b32 s16, s38, 0xffe
	s_mov_b64 s[50:51], -1
	s_mov_b64 s[44:45], 0
	s_cmp_eq_u64 s[16:17], 0
	s_mov_b64 s[38:39], 0
                                        ; implicit-def: $sgpr52_sgpr53
                                        ; implicit-def: $sgpr60
	s_cbranch_scc0 .LBB61_2
; %bb.15:                               ;   in Loop: Header=BB61_3 Depth=1
	s_mov_b64 s[38:39], -1
	s_cmp_lg_u32 s0, 64
                                        ; implicit-def: $sgpr52_sgpr53
                                        ; implicit-def: $sgpr60
	s_cbranch_scc0 .LBB61_1
; %bb.16:                               ;   in Loop: Header=BB61_3 Depth=1
	s_lshl_b64 s[38:39], 1, s0
	s_add_i32 s60, s61, 12
	s_and_b32 s16, s38, 0xffe
	s_cmp_lg_u64 s[16:17], 0
	s_cselect_b64 s[58:59], -1, 0
	s_add_u32 s52, s0, 13
	s_addc_u32 s53, s1, 0
	s_add_i32 s61, s61, 13
	s_mov_b64 s[38:39], 0
	s_branch .LBB61_1
.LBB61_17:
	s_mov_b64 s[16:17], -1
	s_and_b64 vcc, exec, s[22:23]
	s_cbranch_vccnz .LBB61_73
; %bb.18:
	s_xor_b64 s[16:17], s[20:21], -1
	s_andn2_b64 vcc, exec, s[16:17]
	s_cbranch_vccnz .LBB61_32
; %bb.19:
	s_xor_b64 s[16:17], s[24:25], -1
	s_andn2_b64 vcc, exec, s[16:17]
	s_cbranch_vccnz .LBB61_33
; %bb.20:
	s_xor_b64 s[16:17], s[28:29], -1
	s_andn2_b64 vcc, exec, s[16:17]
	s_cbranch_vccnz .LBB61_34
; %bb.21:
	s_xor_b64 s[16:17], s[30:31], -1
	s_andn2_b64 vcc, exec, s[16:17]
	s_cbranch_vccnz .LBB61_35
; %bb.22:
	s_xor_b64 s[16:17], s[34:35], -1
	s_andn2_b64 vcc, exec, s[16:17]
	s_cbranch_vccnz .LBB61_36
; %bb.23:
	s_xor_b64 s[16:17], s[36:37], -1
	s_andn2_b64 vcc, exec, s[16:17]
	s_cbranch_vccnz .LBB61_37
; %bb.24:
	s_xor_b64 s[16:17], s[40:41], -1
	s_andn2_b64 vcc, exec, s[16:17]
	s_cbranch_vccnz .LBB61_38
; %bb.25:
	s_xor_b64 s[16:17], s[42:43], -1
	s_andn2_b64 vcc, exec, s[16:17]
	s_cbranch_vccnz .LBB61_39
; %bb.26:
	s_xor_b64 s[16:17], s[46:47], -1
	s_andn2_b64 vcc, exec, s[16:17]
	s_cbranch_vccnz .LBB61_40
; %bb.27:
	s_xor_b64 s[16:17], s[44:45], -1
	s_andn2_b64 vcc, exec, s[16:17]
	s_cbranch_vccnz .LBB61_41
; %bb.28:
	s_xor_b64 s[16:17], s[50:51], -1
	s_andn2_b64 vcc, exec, s[16:17]
	s_cbranch_vccnz .LBB61_42
; %bb.29:
	s_and_b64 vcc, exec, s[38:39]
	s_cbranch_vccz .LBB61_31
; %bb.30:
	s_mov_b32 s60, s56
.LBB61_31:
	s_mov_b64 s[16:17], 0
	s_branch .LBB61_43
.LBB61_32:
                                        ; implicit-def: $sgpr60
	s_branch .LBB61_71
.LBB61_33:
                                        ; implicit-def: $sgpr60
	s_branch .LBB61_69
.LBB61_34:
                                        ; implicit-def: $sgpr60
	s_branch .LBB61_67
.LBB61_35:
	s_mov_b64 s[10:11], -1
                                        ; implicit-def: $sgpr60
	s_branch .LBB61_64
.LBB61_36:
	s_mov_b64 s[12:13], -1
                                        ; implicit-def: $sgpr60
	s_branch .LBB61_61
.LBB61_37:
	s_mov_b64 s[14:15], -1
                                        ; implicit-def: $sgpr60
	s_branch .LBB61_58
.LBB61_38:
	s_mov_b64 s[16:17], -1
                                        ; implicit-def: $sgpr60
	s_branch .LBB61_55
.LBB61_39:
	s_mov_b64 s[16:17], -1
                                        ; implicit-def: $sgpr60
	s_branch .LBB61_52
.LBB61_40:
	s_mov_b64 s[16:17], -1
                                        ; implicit-def: $sgpr60
	s_branch .LBB61_49
.LBB61_41:
	s_mov_b64 s[16:17], -1
                                        ; implicit-def: $sgpr60
	s_branch .LBB61_46
.LBB61_42:
	s_mov_b64 s[16:17], -1
                                        ; implicit-def: $sgpr60
.LBB61_43:
	s_andn2_b64 vcc, exec, s[16:17]
	s_cbranch_vccnz .LBB61_45
; %bb.44:
	s_mov_b32 s60, s54
.LBB61_45:
	s_mov_b64 s[16:17], 0
.LBB61_46:
	s_andn2_b64 vcc, exec, s[16:17]
	s_cbranch_vccnz .LBB61_48
; %bb.47:
	s_mov_b32 s60, s48
.LBB61_48:
	s_mov_b64 s[16:17], 0
.LBB61_49:
	s_andn2_b64 vcc, exec, s[16:17]
	s_cbranch_vccnz .LBB61_51
; %bb.50:
	s_mov_b32 s60, s26
.LBB61_51:
	s_mov_b64 s[16:17], 0
.LBB61_52:
	s_andn2_b64 vcc, exec, s[16:17]
	s_cbranch_vccnz .LBB61_54
; %bb.53:
	s_mov_b32 s60, s18
.LBB61_54:
	s_mov_b64 s[16:17], 0
.LBB61_55:
	s_andn2_b64 vcc, exec, s[16:17]
	s_cbranch_vccnz .LBB61_57
; %bb.56:
	s_mov_b32 s60, s14
.LBB61_57:
	s_mov_b64 s[14:15], 0
.LBB61_58:
	s_andn2_b64 vcc, exec, s[14:15]
	s_cbranch_vccnz .LBB61_60
; %bb.59:
	s_mov_b32 s60, s12
.LBB61_60:
	s_mov_b64 s[12:13], 0
.LBB61_61:
	s_andn2_b64 vcc, exec, s[12:13]
	s_cbranch_vccnz .LBB61_63
; %bb.62:
	s_mov_b32 s60, s10
.LBB61_63:
	s_mov_b64 s[10:11], 0
.LBB61_64:
	s_andn2_b64 vcc, exec, s[10:11]
	s_cbranch_vccnz .LBB61_66
; %bb.65:
	s_mov_b32 s60, s8
.LBB61_66:
	s_cbranch_execnz .LBB61_68
.LBB61_67:
	s_mov_b32 s60, s6
.LBB61_68:
	s_cbranch_execnz .LBB61_70
.LBB61_69:
	s_mov_b32 s60, s2
.LBB61_70:
	s_cbranch_execnz .LBB61_72
.LBB61_71:
	s_mov_b32 s60, s33
.LBB61_72:
	s_mov_b64 s[16:17], 0
.LBB61_73:
	s_andn2_b64 vcc, exec, s[16:17]
	s_cbranch_vccnz .LBB61_75
; %bb.74:
	s_add_i32 s60, s0, -13
.LBB61_75:
	s_load_dwordx2 s[0:1], s[4:5], 0x0
	s_cmp_gt_u32 s60, 62
	s_cselect_b64 s[2:3], -1, 0
	v_cndmask_b32_e64 v1, 0, 1, s[2:3]
	s_waitcnt lgkmcnt(0)
	global_store_byte v0, v1, s[0:1]
	s_endpgm
	.section	.rodata,"a",@progbits
	.p2align	6, 0x0
	.amdhsa_kernel _Z21device_test_warp_maskILj12EEvP10TestStatus
		.amdhsa_group_segment_fixed_size 0
		.amdhsa_private_segment_fixed_size 0
		.amdhsa_kernarg_size 8
		.amdhsa_user_sgpr_count 6
		.amdhsa_user_sgpr_private_segment_buffer 1
		.amdhsa_user_sgpr_dispatch_ptr 0
		.amdhsa_user_sgpr_queue_ptr 0
		.amdhsa_user_sgpr_kernarg_segment_ptr 1
		.amdhsa_user_sgpr_dispatch_id 0
		.amdhsa_user_sgpr_flat_scratch_init 0
		.amdhsa_user_sgpr_kernarg_preload_length 0
		.amdhsa_user_sgpr_kernarg_preload_offset 0
		.amdhsa_user_sgpr_private_segment_size 0
		.amdhsa_uses_dynamic_stack 0
		.amdhsa_system_sgpr_private_segment_wavefront_offset 0
		.amdhsa_system_sgpr_workgroup_id_x 1
		.amdhsa_system_sgpr_workgroup_id_y 0
		.amdhsa_system_sgpr_workgroup_id_z 0
		.amdhsa_system_sgpr_workgroup_info 0
		.amdhsa_system_vgpr_workitem_id 0
		.amdhsa_next_free_vgpr 2
		.amdhsa_next_free_sgpr 62
		.amdhsa_accum_offset 4
		.amdhsa_reserve_vcc 1
		.amdhsa_reserve_flat_scratch 0
		.amdhsa_float_round_mode_32 0
		.amdhsa_float_round_mode_16_64 0
		.amdhsa_float_denorm_mode_32 3
		.amdhsa_float_denorm_mode_16_64 3
		.amdhsa_dx10_clamp 1
		.amdhsa_ieee_mode 1
		.amdhsa_fp16_overflow 0
		.amdhsa_tg_split 0
		.amdhsa_exception_fp_ieee_invalid_op 0
		.amdhsa_exception_fp_denorm_src 0
		.amdhsa_exception_fp_ieee_div_zero 0
		.amdhsa_exception_fp_ieee_overflow 0
		.amdhsa_exception_fp_ieee_underflow 0
		.amdhsa_exception_fp_ieee_inexact 0
		.amdhsa_exception_int_div_zero 0
	.end_amdhsa_kernel
	.section	.text._Z21device_test_warp_maskILj12EEvP10TestStatus,"axG",@progbits,_Z21device_test_warp_maskILj12EEvP10TestStatus,comdat
.Lfunc_end61:
	.size	_Z21device_test_warp_maskILj12EEvP10TestStatus, .Lfunc_end61-_Z21device_test_warp_maskILj12EEvP10TestStatus
                                        ; -- End function
	.section	.AMDGPU.csdata,"",@progbits
; Kernel info:
; codeLenInByte = 976
; NumSgprs: 66
; NumVgprs: 2
; NumAgprs: 0
; TotalNumVgprs: 2
; ScratchSize: 0
; MemoryBound: 0
; FloatMode: 240
; IeeeMode: 1
; LDSByteSize: 0 bytes/workgroup (compile time only)
; SGPRBlocks: 8
; VGPRBlocks: 0
; NumSGPRsForWavesPerEU: 66
; NumVGPRsForWavesPerEU: 2
; AccumOffset: 4
; Occupancy: 8
; WaveLimiterHint : 0
; COMPUTE_PGM_RSRC2:SCRATCH_EN: 0
; COMPUTE_PGM_RSRC2:USER_SGPR: 6
; COMPUTE_PGM_RSRC2:TRAP_HANDLER: 0
; COMPUTE_PGM_RSRC2:TGID_X_EN: 1
; COMPUTE_PGM_RSRC2:TGID_Y_EN: 0
; COMPUTE_PGM_RSRC2:TGID_Z_EN: 0
; COMPUTE_PGM_RSRC2:TIDIG_COMP_CNT: 0
; COMPUTE_PGM_RSRC3_GFX90A:ACCUM_OFFSET: 0
; COMPUTE_PGM_RSRC3_GFX90A:TG_SPLIT: 0
	.section	.text._Z21device_test_warp_maskILj13EEvP10TestStatus,"axG",@progbits,_Z21device_test_warp_maskILj13EEvP10TestStatus,comdat
	.protected	_Z21device_test_warp_maskILj13EEvP10TestStatus ; -- Begin function _Z21device_test_warp_maskILj13EEvP10TestStatus
	.globl	_Z21device_test_warp_maskILj13EEvP10TestStatus
	.p2align	8
	.type	_Z21device_test_warp_maskILj13EEvP10TestStatus,@function
_Z21device_test_warp_maskILj13EEvP10TestStatus: ; @_Z21device_test_warp_maskILj13EEvP10TestStatus
; %bb.0:
	s_mov_b32 s20, 13
	s_mov_b64 s[10:11], 16
	s_mov_b32 s3, 0
	s_branch .LBB62_3
.LBB62_1:                               ;   in Loop: Header=BB62_3 Depth=1
	s_mov_b64 s[14:15], 0
.LBB62_2:                               ;   in Loop: Header=BB62_3 Depth=1
	s_and_b64 vcc, exec, s[16:17]
	s_cbranch_vccnz .LBB62_7
.LBB62_3:                               ; =>This Inner Loop Header: Depth=1
	s_mov_b64 s[0:1], s[10:11]
	s_add_u32 s18, s0, -2
	s_lshl_b64 s[6:7], 1, s18
	s_and_b32 s2, s6, 0x1ffe
	s_cmp_lg_u64 s[2:3], 0
	s_mov_b64 s[12:13], 0
	s_mov_b64 s[14:15], 0
	s_mov_b64 s[8:9], -1
	s_mov_b64 s[16:17], -1
                                        ; implicit-def: $sgpr10_sgpr11
                                        ; implicit-def: $sgpr19
                                        ; implicit-def: $sgpr6_sgpr7
	s_cbranch_scc1 .LBB62_2
; %bb.4:                                ;   in Loop: Header=BB62_3 Depth=1
	s_add_u32 s6, s0, -1
	s_lshl_b64 s[8:9], 1, s6
	s_and_b32 s2, s8, 0x1ffe
	s_mov_b64 s[14:15], -1
	s_mov_b64 s[8:9], 0
	s_cmp_eq_u64 s[2:3], 0
                                        ; implicit-def: $sgpr10_sgpr11
                                        ; implicit-def: $sgpr19
	s_cbranch_scc0 .LBB62_2
; %bb.5:                                ;   in Loop: Header=BB62_3 Depth=1
	s_mov_b64 s[12:13], -1
	s_cmp_lg_u32 s0, 64
                                        ; implicit-def: $sgpr10_sgpr11
                                        ; implicit-def: $sgpr19
	s_cbranch_scc0 .LBB62_1
; %bb.6:                                ;   in Loop: Header=BB62_3 Depth=1
	s_lshl_b64 s[10:11], 1, s0
	s_add_i32 s19, s20, 2
	s_and_b32 s2, s10, 0x1ffe
	s_cmp_lg_u64 s[2:3], 0
	s_cselect_b64 s[16:17], -1, 0
	s_add_u32 s10, s0, 3
	s_addc_u32 s11, s1, 0
	s_add_i32 s20, s20, 3
	s_mov_b64 s[12:13], 0
	s_branch .LBB62_1
.LBB62_7:
	s_mov_b64 s[2:3], -1
	s_and_b64 vcc, exec, s[8:9]
	s_cbranch_vccnz .LBB62_15
; %bb.8:
	s_xor_b64 s[2:3], s[14:15], -1
	s_andn2_b64 vcc, exec, s[2:3]
	s_cbranch_vccnz .LBB62_12
; %bb.9:
	s_and_b64 vcc, exec, s[12:13]
	s_cbranch_vccz .LBB62_11
; %bb.10:
	s_mov_b32 s19, s6
.LBB62_11:
	s_cbranch_execz .LBB62_13
	s_branch .LBB62_14
.LBB62_12:
                                        ; implicit-def: $sgpr19
.LBB62_13:
	s_mov_b32 s19, s18
.LBB62_14:
	s_mov_b64 s[2:3], 0
.LBB62_15:
	s_andn2_b64 vcc, exec, s[2:3]
	s_cbranch_vccnz .LBB62_17
; %bb.16:
	s_add_i32 s19, s0, -3
.LBB62_17:
	s_load_dwordx2 s[0:1], s[4:5], 0x0
	s_cmp_gt_u32 s19, 62
	s_cselect_b64 s[2:3], -1, 0
	v_cndmask_b32_e64 v1, 0, 1, s[2:3]
	s_waitcnt lgkmcnt(0)
	global_store_byte v0, v1, s[0:1]
	s_endpgm
	.section	.rodata,"a",@progbits
	.p2align	6, 0x0
	.amdhsa_kernel _Z21device_test_warp_maskILj13EEvP10TestStatus
		.amdhsa_group_segment_fixed_size 0
		.amdhsa_private_segment_fixed_size 0
		.amdhsa_kernarg_size 8
		.amdhsa_user_sgpr_count 6
		.amdhsa_user_sgpr_private_segment_buffer 1
		.amdhsa_user_sgpr_dispatch_ptr 0
		.amdhsa_user_sgpr_queue_ptr 0
		.amdhsa_user_sgpr_kernarg_segment_ptr 1
		.amdhsa_user_sgpr_dispatch_id 0
		.amdhsa_user_sgpr_flat_scratch_init 0
		.amdhsa_user_sgpr_kernarg_preload_length 0
		.amdhsa_user_sgpr_kernarg_preload_offset 0
		.amdhsa_user_sgpr_private_segment_size 0
		.amdhsa_uses_dynamic_stack 0
		.amdhsa_system_sgpr_private_segment_wavefront_offset 0
		.amdhsa_system_sgpr_workgroup_id_x 1
		.amdhsa_system_sgpr_workgroup_id_y 0
		.amdhsa_system_sgpr_workgroup_id_z 0
		.amdhsa_system_sgpr_workgroup_info 0
		.amdhsa_system_vgpr_workitem_id 0
		.amdhsa_next_free_vgpr 2
		.amdhsa_next_free_sgpr 21
		.amdhsa_accum_offset 4
		.amdhsa_reserve_vcc 1
		.amdhsa_reserve_flat_scratch 0
		.amdhsa_float_round_mode_32 0
		.amdhsa_float_round_mode_16_64 0
		.amdhsa_float_denorm_mode_32 3
		.amdhsa_float_denorm_mode_16_64 3
		.amdhsa_dx10_clamp 1
		.amdhsa_ieee_mode 1
		.amdhsa_fp16_overflow 0
		.amdhsa_tg_split 0
		.amdhsa_exception_fp_ieee_invalid_op 0
		.amdhsa_exception_fp_denorm_src 0
		.amdhsa_exception_fp_ieee_div_zero 0
		.amdhsa_exception_fp_ieee_overflow 0
		.amdhsa_exception_fp_ieee_underflow 0
		.amdhsa_exception_fp_ieee_inexact 0
		.amdhsa_exception_int_div_zero 0
	.end_amdhsa_kernel
	.section	.text._Z21device_test_warp_maskILj13EEvP10TestStatus,"axG",@progbits,_Z21device_test_warp_maskILj13EEvP10TestStatus,comdat
.Lfunc_end62:
	.size	_Z21device_test_warp_maskILj13EEvP10TestStatus, .Lfunc_end62-_Z21device_test_warp_maskILj13EEvP10TestStatus
                                        ; -- End function
	.section	.AMDGPU.csdata,"",@progbits
; Kernel info:
; codeLenInByte = 264
; NumSgprs: 25
; NumVgprs: 2
; NumAgprs: 0
; TotalNumVgprs: 2
; ScratchSize: 0
; MemoryBound: 0
; FloatMode: 240
; IeeeMode: 1
; LDSByteSize: 0 bytes/workgroup (compile time only)
; SGPRBlocks: 3
; VGPRBlocks: 0
; NumSGPRsForWavesPerEU: 25
; NumVGPRsForWavesPerEU: 2
; AccumOffset: 4
; Occupancy: 8
; WaveLimiterHint : 0
; COMPUTE_PGM_RSRC2:SCRATCH_EN: 0
; COMPUTE_PGM_RSRC2:USER_SGPR: 6
; COMPUTE_PGM_RSRC2:TRAP_HANDLER: 0
; COMPUTE_PGM_RSRC2:TGID_X_EN: 1
; COMPUTE_PGM_RSRC2:TGID_Y_EN: 0
; COMPUTE_PGM_RSRC2:TGID_Z_EN: 0
; COMPUTE_PGM_RSRC2:TIDIG_COMP_CNT: 0
; COMPUTE_PGM_RSRC3_GFX90A:ACCUM_OFFSET: 0
; COMPUTE_PGM_RSRC3_GFX90A:TG_SPLIT: 0
	.section	.text._Z21device_test_warp_maskILj14EEvP10TestStatus,"axG",@progbits,_Z21device_test_warp_maskILj14EEvP10TestStatus,comdat
	.protected	_Z21device_test_warp_maskILj14EEvP10TestStatus ; -- Begin function _Z21device_test_warp_maskILj14EEvP10TestStatus
	.globl	_Z21device_test_warp_maskILj14EEvP10TestStatus
	.p2align	8
	.type	_Z21device_test_warp_maskILj14EEvP10TestStatus,@function
_Z21device_test_warp_maskILj14EEvP10TestStatus: ; @_Z21device_test_warp_maskILj14EEvP10TestStatus
; %bb.0:
	s_mov_b32 s48, 14
	s_mov_b64 s[42:43], 15
	s_mov_b32 s15, 0
	s_branch .LBB63_4
.LBB63_1:                               ;   in Loop: Header=BB63_4 Depth=1
	s_add_i32 s3, s0, 9
	s_lshl_b64 s[36:37], 1, s3
	s_and_b32 s14, s36, 0x1554
	s_cmp_lg_u64 s[14:15], 0
	s_cselect_b64 s[46:47], -1, 0
	s_add_u32 s42, s0, 10
	s_addc_u32 s43, s1, 0
	s_add_i32 s48, s48, 10
	s_mov_b64 s[36:37], 0
                                        ; implicit-def: $sgpr33
.LBB63_2:                               ;   in Loop: Header=BB63_4 Depth=1
	s_mov_b64 s[40:41], 0
.LBB63_3:                               ;   in Loop: Header=BB63_4 Depth=1
	s_and_b64 vcc, exec, s[46:47]
	s_cbranch_vccnz .LBB63_15
.LBB63_4:                               ; =>This Inner Loop Header: Depth=1
	s_mov_b64 s[0:1], s[42:43]
	s_lshl_b64 s[2:3], 1, s0
	s_and_b32 s14, s2, 0x2aaa
	s_mov_b64 s[16:17], -1
	s_cmp_lg_u64 s[14:15], 0
	s_mov_b64 s[36:37], 0
	s_mov_b64 s[40:41], 0
	;; [unrolled: 1-line block ×9, first 2 shown]
	s_mov_b64 s[46:47], -1
                                        ; implicit-def: $sgpr42_sgpr43
                                        ; implicit-def: $sgpr33
                                        ; implicit-def: $sgpr2_sgpr3
                                        ; implicit-def: $sgpr6_sgpr7
                                        ; implicit-def: $sgpr8_sgpr9
                                        ; implicit-def: $sgpr10_sgpr11
                                        ; implicit-def: $sgpr12_sgpr13
                                        ; implicit-def: $sgpr20_sgpr21
                                        ; implicit-def: $sgpr38_sgpr39
                                        ; implicit-def: $sgpr44_sgpr45
	s_cbranch_scc1 .LBB63_3
; %bb.5:                                ;   in Loop: Header=BB63_4 Depth=1
	s_add_u32 s2, s0, 1
	s_lshl_b64 s[6:7], 1, s2
	s_and_b32 s14, s6, 0x1554
	s_mov_b64 s[18:19], -1
	s_mov_b64 s[16:17], 0
	s_cmp_eq_u64 s[14:15], 0
                                        ; implicit-def: $sgpr42_sgpr43
                                        ; implicit-def: $sgpr33
                                        ; implicit-def: $sgpr6_sgpr7
                                        ; implicit-def: $sgpr8_sgpr9
                                        ; implicit-def: $sgpr10_sgpr11
                                        ; implicit-def: $sgpr12_sgpr13
                                        ; implicit-def: $sgpr20_sgpr21
                                        ; implicit-def: $sgpr38_sgpr39
                                        ; implicit-def: $sgpr44_sgpr45
	s_cbranch_scc0 .LBB63_3
; %bb.6:                                ;   in Loop: Header=BB63_4 Depth=1
	s_add_u32 s6, s0, 2
	s_lshl_b64 s[8:9], 1, s6
	s_and_b32 s14, s8, 0x2aaa
	s_mov_b64 s[22:23], -1
	s_mov_b64 s[18:19], 0
	s_cmp_eq_u64 s[14:15], 0
                                        ; implicit-def: $sgpr42_sgpr43
                                        ; implicit-def: $sgpr33
                                        ; implicit-def: $sgpr8_sgpr9
                                        ; implicit-def: $sgpr10_sgpr11
                                        ; implicit-def: $sgpr12_sgpr13
                                        ; implicit-def: $sgpr20_sgpr21
                                        ; implicit-def: $sgpr38_sgpr39
                                        ; implicit-def: $sgpr44_sgpr45
	s_cbranch_scc0 .LBB63_3
; %bb.7:                                ;   in Loop: Header=BB63_4 Depth=1
	s_add_u32 s8, s0, 3
	s_lshl_b64 s[10:11], 1, s8
	s_and_b32 s14, s10, 0x1554
	s_mov_b64 s[24:25], -1
	s_mov_b64 s[22:23], 0
	s_cmp_eq_u64 s[14:15], 0
                                        ; implicit-def: $sgpr42_sgpr43
                                        ; implicit-def: $sgpr33
                                        ; implicit-def: $sgpr10_sgpr11
                                        ; implicit-def: $sgpr12_sgpr13
                                        ; implicit-def: $sgpr20_sgpr21
                                        ; implicit-def: $sgpr38_sgpr39
                                        ; implicit-def: $sgpr44_sgpr45
	s_cbranch_scc0 .LBB63_3
; %bb.8:                                ;   in Loop: Header=BB63_4 Depth=1
	s_add_u32 s10, s0, 4
	s_lshl_b64 s[12:13], 1, s10
	s_and_b32 s14, s12, 0x2aaa
	s_mov_b64 s[26:27], -1
	s_mov_b64 s[24:25], 0
	s_cmp_eq_u64 s[14:15], 0
                                        ; implicit-def: $sgpr42_sgpr43
                                        ; implicit-def: $sgpr33
                                        ; implicit-def: $sgpr12_sgpr13
                                        ; implicit-def: $sgpr20_sgpr21
                                        ; implicit-def: $sgpr38_sgpr39
                                        ; implicit-def: $sgpr44_sgpr45
	s_cbranch_scc0 .LBB63_3
; %bb.9:                                ;   in Loop: Header=BB63_4 Depth=1
	s_add_u32 s12, s0, 5
	s_lshl_b64 s[20:21], 1, s12
	s_and_b32 s14, s20, 0x1554
	s_mov_b64 s[28:29], -1
	s_mov_b64 s[26:27], 0
	s_cmp_eq_u64 s[14:15], 0
                                        ; implicit-def: $sgpr42_sgpr43
                                        ; implicit-def: $sgpr33
                                        ; implicit-def: $sgpr20_sgpr21
                                        ; implicit-def: $sgpr38_sgpr39
                                        ; implicit-def: $sgpr44_sgpr45
	s_cbranch_scc0 .LBB63_3
; %bb.10:                               ;   in Loop: Header=BB63_4 Depth=1
	s_add_u32 s20, s0, 6
	s_lshl_b64 s[28:29], 1, s20
	s_and_b32 s14, s28, 0x2aaa
	s_mov_b64 s[30:31], -1
	s_mov_b64 s[28:29], 0
	s_cmp_eq_u64 s[14:15], 0
                                        ; implicit-def: $sgpr42_sgpr43
                                        ; implicit-def: $sgpr33
                                        ; implicit-def: $sgpr38_sgpr39
                                        ; implicit-def: $sgpr44_sgpr45
	s_cbranch_scc0 .LBB63_3
; %bb.11:                               ;   in Loop: Header=BB63_4 Depth=1
	s_add_u32 s38, s0, 7
	s_lshl_b64 s[30:31], 1, s38
	s_and_b32 s14, s30, 0x1554
	s_mov_b64 s[34:35], -1
	s_mov_b64 s[30:31], 0
	s_cmp_eq_u64 s[14:15], 0
                                        ; implicit-def: $sgpr42_sgpr43
                                        ; implicit-def: $sgpr33
                                        ; implicit-def: $sgpr44_sgpr45
	s_cbranch_scc0 .LBB63_3
; %bb.12:                               ;   in Loop: Header=BB63_4 Depth=1
	s_add_u32 s44, s0, 8
	s_lshl_b64 s[34:35], 1, s44
	s_and_b32 s14, s34, 0x2aaa
	s_mov_b64 s[40:41], -1
	s_mov_b64 s[34:35], 0
	s_cmp_eq_u64 s[14:15], 0
                                        ; implicit-def: $sgpr42_sgpr43
                                        ; implicit-def: $sgpr33
	s_cbranch_scc0 .LBB63_3
; %bb.13:                               ;   in Loop: Header=BB63_4 Depth=1
	s_cmp_lg_u32 s0, 55
	s_cbranch_scc1 .LBB63_1
; %bb.14:                               ;   in Loop: Header=BB63_4 Depth=1
	s_add_i32 s33, s48, 9
	s_mov_b64 s[36:37], -1
                                        ; implicit-def: $sgpr48
                                        ; implicit-def: $sgpr42_sgpr43
	s_branch .LBB63_2
.LBB63_15:
	s_mov_b64 s[14:15], -1
	s_and_b64 vcc, exec, s[16:17]
	s_cbranch_vccnz .LBB63_56
; %bb.16:
	s_xor_b64 s[14:15], s[18:19], -1
	s_andn2_b64 vcc, exec, s[14:15]
	s_cbranch_vccnz .LBB63_27
; %bb.17:
	s_xor_b64 s[14:15], s[22:23], -1
	s_andn2_b64 vcc, exec, s[14:15]
	;; [unrolled: 4-line block ×8, first 2 shown]
	s_cbranch_vccnz .LBB63_34
; %bb.24:
	s_xor_b64 s[14:15], s[36:37], -1
	s_and_b64 vcc, exec, s[14:15]
	s_cbranch_vccz .LBB63_26
; %bb.25:
	s_mov_b32 s33, s44
.LBB63_26:
	s_mov_b64 s[14:15], 0
	s_branch .LBB63_35
.LBB63_27:
                                        ; implicit-def: $sgpr33
	s_branch .LBB63_54
.LBB63_28:
                                        ; implicit-def: $sgpr33
	s_branch .LBB63_52
.LBB63_29:
                                        ; implicit-def: $sgpr33
	s_branch .LBB63_50
.LBB63_30:
	s_mov_b64 s[10:11], -1
                                        ; implicit-def: $sgpr33
	s_branch .LBB63_47
.LBB63_31:
	s_mov_b64 s[12:13], -1
                                        ; implicit-def: $sgpr33
	s_branch .LBB63_44
.LBB63_32:
	s_mov_b64 s[14:15], -1
                                        ; implicit-def: $sgpr33
	s_branch .LBB63_41
.LBB63_33:
	s_mov_b64 s[14:15], -1
                                        ; implicit-def: $sgpr33
	s_branch .LBB63_38
.LBB63_34:
	s_mov_b64 s[14:15], -1
                                        ; implicit-def: $sgpr33
.LBB63_35:
	s_andn2_b64 vcc, exec, s[14:15]
	s_cbranch_vccnz .LBB63_37
; %bb.36:
	s_mov_b32 s33, s38
.LBB63_37:
	s_mov_b64 s[14:15], 0
.LBB63_38:
	s_andn2_b64 vcc, exec, s[14:15]
	s_cbranch_vccnz .LBB63_40
; %bb.39:
	s_mov_b32 s33, s20
.LBB63_40:
	s_mov_b64 s[14:15], 0
.LBB63_41:
	s_andn2_b64 vcc, exec, s[14:15]
	s_cbranch_vccnz .LBB63_43
; %bb.42:
	s_mov_b32 s33, s12
.LBB63_43:
	s_mov_b64 s[12:13], 0
.LBB63_44:
	s_andn2_b64 vcc, exec, s[12:13]
	s_cbranch_vccnz .LBB63_46
; %bb.45:
	s_mov_b32 s33, s10
.LBB63_46:
	s_mov_b64 s[10:11], 0
.LBB63_47:
	s_andn2_b64 vcc, exec, s[10:11]
	s_cbranch_vccnz .LBB63_49
; %bb.48:
	s_mov_b32 s33, s8
.LBB63_49:
	s_cbranch_execnz .LBB63_51
.LBB63_50:
	s_mov_b32 s33, s6
.LBB63_51:
	s_cbranch_execnz .LBB63_53
.LBB63_52:
	s_mov_b32 s33, s2
.LBB63_53:
	s_cbranch_execnz .LBB63_55
.LBB63_54:
	s_mov_b32 s33, s0
.LBB63_55:
	s_mov_b64 s[14:15], 0
.LBB63_56:
	s_andn2_b64 vcc, exec, s[14:15]
	s_cbranch_vccnz .LBB63_58
; %bb.57:
	s_add_i32 s33, s0, -1
.LBB63_58:
	s_load_dwordx2 s[0:1], s[4:5], 0x0
	s_cmp_gt_u32 s33, 62
	s_cselect_b64 s[2:3], -1, 0
	v_cndmask_b32_e64 v1, 0, 1, s[2:3]
	s_waitcnt lgkmcnt(0)
	global_store_byte v0, v1, s[0:1]
	s_endpgm
	.section	.rodata,"a",@progbits
	.p2align	6, 0x0
	.amdhsa_kernel _Z21device_test_warp_maskILj14EEvP10TestStatus
		.amdhsa_group_segment_fixed_size 0
		.amdhsa_private_segment_fixed_size 0
		.amdhsa_kernarg_size 8
		.amdhsa_user_sgpr_count 6
		.amdhsa_user_sgpr_private_segment_buffer 1
		.amdhsa_user_sgpr_dispatch_ptr 0
		.amdhsa_user_sgpr_queue_ptr 0
		.amdhsa_user_sgpr_kernarg_segment_ptr 1
		.amdhsa_user_sgpr_dispatch_id 0
		.amdhsa_user_sgpr_flat_scratch_init 0
		.amdhsa_user_sgpr_kernarg_preload_length 0
		.amdhsa_user_sgpr_kernarg_preload_offset 0
		.amdhsa_user_sgpr_private_segment_size 0
		.amdhsa_uses_dynamic_stack 0
		.amdhsa_system_sgpr_private_segment_wavefront_offset 0
		.amdhsa_system_sgpr_workgroup_id_x 1
		.amdhsa_system_sgpr_workgroup_id_y 0
		.amdhsa_system_sgpr_workgroup_id_z 0
		.amdhsa_system_sgpr_workgroup_info 0
		.amdhsa_system_vgpr_workitem_id 0
		.amdhsa_next_free_vgpr 2
		.amdhsa_next_free_sgpr 49
		.amdhsa_accum_offset 4
		.amdhsa_reserve_vcc 1
		.amdhsa_reserve_flat_scratch 0
		.amdhsa_float_round_mode_32 0
		.amdhsa_float_round_mode_16_64 0
		.amdhsa_float_denorm_mode_32 3
		.amdhsa_float_denorm_mode_16_64 3
		.amdhsa_dx10_clamp 1
		.amdhsa_ieee_mode 1
		.amdhsa_fp16_overflow 0
		.amdhsa_tg_split 0
		.amdhsa_exception_fp_ieee_invalid_op 0
		.amdhsa_exception_fp_denorm_src 0
		.amdhsa_exception_fp_ieee_div_zero 0
		.amdhsa_exception_fp_ieee_overflow 0
		.amdhsa_exception_fp_ieee_underflow 0
		.amdhsa_exception_fp_ieee_inexact 0
		.amdhsa_exception_int_div_zero 0
	.end_amdhsa_kernel
	.section	.text._Z21device_test_warp_maskILj14EEvP10TestStatus,"axG",@progbits,_Z21device_test_warp_maskILj14EEvP10TestStatus,comdat
.Lfunc_end63:
	.size	_Z21device_test_warp_maskILj14EEvP10TestStatus, .Lfunc_end63-_Z21device_test_warp_maskILj14EEvP10TestStatus
                                        ; -- End function
	.section	.AMDGPU.csdata,"",@progbits
; Kernel info:
; codeLenInByte = 748
; NumSgprs: 53
; NumVgprs: 2
; NumAgprs: 0
; TotalNumVgprs: 2
; ScratchSize: 0
; MemoryBound: 0
; FloatMode: 240
; IeeeMode: 1
; LDSByteSize: 0 bytes/workgroup (compile time only)
; SGPRBlocks: 6
; VGPRBlocks: 0
; NumSGPRsForWavesPerEU: 53
; NumVGPRsForWavesPerEU: 2
; AccumOffset: 4
; Occupancy: 8
; WaveLimiterHint : 0
; COMPUTE_PGM_RSRC2:SCRATCH_EN: 0
; COMPUTE_PGM_RSRC2:USER_SGPR: 6
; COMPUTE_PGM_RSRC2:TRAP_HANDLER: 0
; COMPUTE_PGM_RSRC2:TGID_X_EN: 1
; COMPUTE_PGM_RSRC2:TGID_Y_EN: 0
; COMPUTE_PGM_RSRC2:TGID_Z_EN: 0
; COMPUTE_PGM_RSRC2:TIDIG_COMP_CNT: 0
; COMPUTE_PGM_RSRC3_GFX90A:ACCUM_OFFSET: 0
; COMPUTE_PGM_RSRC3_GFX90A:TG_SPLIT: 0
	.section	.text._Z21device_test_warp_maskILj15EEvP10TestStatus,"axG",@progbits,_Z21device_test_warp_maskILj15EEvP10TestStatus,comdat
	.protected	_Z21device_test_warp_maskILj15EEvP10TestStatus ; -- Begin function _Z21device_test_warp_maskILj15EEvP10TestStatus
	.globl	_Z21device_test_warp_maskILj15EEvP10TestStatus
	.p2align	8
	.type	_Z21device_test_warp_maskILj15EEvP10TestStatus,@function
_Z21device_test_warp_maskILj15EEvP10TestStatus: ; @_Z21device_test_warp_maskILj15EEvP10TestStatus
; %bb.0:
	s_mov_b32 s37, 15
	s_mov_b64 s[28:29], 22
	s_mov_b32 s11, 0
	s_branch .LBB64_3
.LBB64_1:                               ;   in Loop: Header=BB64_3 Depth=1
	s_mov_b64 s[30:31], 0
.LBB64_2:                               ;   in Loop: Header=BB64_3 Depth=1
	s_and_b64 vcc, exec, s[34:35]
	s_cbranch_vccnz .LBB64_11
.LBB64_3:                               ; =>This Inner Loop Header: Depth=1
	s_mov_b64 s[0:1], s[28:29]
	s_add_u32 s33, s0, -6
	s_lshl_b64 s[2:3], 1, s33
	s_and_b32 s10, s2, 0x7ffe
	s_cmp_lg_u64 s[10:11], 0
	s_mov_b64 s[24:25], 0
	s_mov_b64 s[30:31], 0
	;; [unrolled: 1-line block ×6, first 2 shown]
	s_mov_b64 s[16:17], -1
	s_mov_b64 s[34:35], -1
                                        ; implicit-def: $sgpr28_sgpr29
                                        ; implicit-def: $sgpr36
                                        ; implicit-def: $sgpr2_sgpr3
                                        ; implicit-def: $sgpr6_sgpr7
                                        ; implicit-def: $sgpr8_sgpr9
                                        ; implicit-def: $sgpr12_sgpr13
                                        ; implicit-def: $sgpr26_sgpr27
	s_cbranch_scc1 .LBB64_2
; %bb.4:                                ;   in Loop: Header=BB64_3 Depth=1
	s_add_u32 s2, s0, -5
	s_lshl_b64 s[6:7], 1, s2
	s_and_b32 s10, s6, 0x7ffe
	s_mov_b64 s[14:15], -1
	s_mov_b64 s[16:17], 0
	s_cmp_eq_u64 s[10:11], 0
                                        ; implicit-def: $sgpr28_sgpr29
                                        ; implicit-def: $sgpr36
                                        ; implicit-def: $sgpr6_sgpr7
                                        ; implicit-def: $sgpr8_sgpr9
                                        ; implicit-def: $sgpr12_sgpr13
                                        ; implicit-def: $sgpr26_sgpr27
	s_cbranch_scc0 .LBB64_2
; %bb.5:                                ;   in Loop: Header=BB64_3 Depth=1
	s_add_u32 s6, s0, -4
	s_lshl_b64 s[8:9], 1, s6
	s_and_b32 s10, s8, 0x7ffe
	s_mov_b64 s[18:19], -1
	s_mov_b64 s[14:15], 0
	s_cmp_eq_u64 s[10:11], 0
                                        ; implicit-def: $sgpr28_sgpr29
                                        ; implicit-def: $sgpr36
                                        ; implicit-def: $sgpr8_sgpr9
                                        ; implicit-def: $sgpr12_sgpr13
                                        ; implicit-def: $sgpr26_sgpr27
	s_cbranch_scc0 .LBB64_2
; %bb.6:                                ;   in Loop: Header=BB64_3 Depth=1
	s_add_u32 s8, s0, -3
	s_lshl_b64 s[12:13], 1, s8
	s_and_b32 s10, s12, 0x7ffe
	s_mov_b64 s[20:21], -1
	s_mov_b64 s[18:19], 0
	s_cmp_eq_u64 s[10:11], 0
                                        ; implicit-def: $sgpr28_sgpr29
                                        ; implicit-def: $sgpr36
                                        ; implicit-def: $sgpr12_sgpr13
                                        ; implicit-def: $sgpr26_sgpr27
	s_cbranch_scc0 .LBB64_2
; %bb.7:                                ;   in Loop: Header=BB64_3 Depth=1
	s_add_u32 s12, s0, -2
	s_lshl_b64 s[20:21], 1, s12
	s_and_b32 s10, s20, 0x7ffe
	s_mov_b64 s[22:23], -1
	s_mov_b64 s[20:21], 0
	s_cmp_eq_u64 s[10:11], 0
                                        ; implicit-def: $sgpr28_sgpr29
                                        ; implicit-def: $sgpr36
                                        ; implicit-def: $sgpr26_sgpr27
	s_cbranch_scc0 .LBB64_2
; %bb.8:                                ;   in Loop: Header=BB64_3 Depth=1
	s_add_u32 s26, s0, -1
	s_lshl_b64 s[22:23], 1, s26
	s_and_b32 s10, s22, 0x7ffe
	s_mov_b64 s[30:31], -1
	s_mov_b64 s[22:23], 0
	s_cmp_eq_u64 s[10:11], 0
                                        ; implicit-def: $sgpr28_sgpr29
                                        ; implicit-def: $sgpr36
	s_cbranch_scc0 .LBB64_2
; %bb.9:                                ;   in Loop: Header=BB64_3 Depth=1
	s_mov_b64 s[24:25], -1
	s_cmp_lg_u32 s0, 64
                                        ; implicit-def: $sgpr28_sgpr29
                                        ; implicit-def: $sgpr36
	s_cbranch_scc0 .LBB64_1
; %bb.10:                               ;   in Loop: Header=BB64_3 Depth=1
	s_lshl_b64 s[24:25], 1, s0
	s_add_i32 s36, s37, 6
	s_and_b32 s10, s24, 0x7ffe
	s_cmp_lg_u64 s[10:11], 0
	s_cselect_b64 s[34:35], -1, 0
	s_add_u32 s28, s0, 7
	s_addc_u32 s29, s1, 0
	s_add_i32 s37, s37, 7
	s_mov_b64 s[24:25], 0
	s_branch .LBB64_1
.LBB64_11:
	s_mov_b64 s[10:11], -1
	s_and_b64 vcc, exec, s[16:17]
	s_cbranch_vccnz .LBB64_37
; %bb.12:
	s_xor_b64 s[10:11], s[14:15], -1
	s_andn2_b64 vcc, exec, s[10:11]
	s_cbranch_vccnz .LBB64_20
; %bb.13:
	s_xor_b64 s[10:11], s[18:19], -1
	s_andn2_b64 vcc, exec, s[10:11]
	;; [unrolled: 4-line block ×5, first 2 shown]
	s_cbranch_vccnz .LBB64_24
; %bb.17:
	s_and_b64 vcc, exec, s[24:25]
	s_cbranch_vccz .LBB64_19
; %bb.18:
	s_mov_b32 s36, s26
.LBB64_19:
	s_mov_b64 s[10:11], 0
	s_branch .LBB64_25
.LBB64_20:
                                        ; implicit-def: $sgpr36
	s_branch .LBB64_35
.LBB64_21:
                                        ; implicit-def: $sgpr36
	s_branch .LBB64_33
.LBB64_22:
                                        ; implicit-def: $sgpr36
	s_branch .LBB64_31
.LBB64_23:
	s_mov_b64 s[10:11], -1
                                        ; implicit-def: $sgpr36
	s_branch .LBB64_28
.LBB64_24:
	s_mov_b64 s[10:11], -1
                                        ; implicit-def: $sgpr36
.LBB64_25:
	s_andn2_b64 vcc, exec, s[10:11]
	s_cbranch_vccnz .LBB64_27
; %bb.26:
	s_mov_b32 s36, s12
.LBB64_27:
	s_mov_b64 s[10:11], 0
.LBB64_28:
	s_andn2_b64 vcc, exec, s[10:11]
	s_cbranch_vccnz .LBB64_30
; %bb.29:
	s_mov_b32 s36, s8
.LBB64_30:
	s_cbranch_execnz .LBB64_32
.LBB64_31:
	s_mov_b32 s36, s6
.LBB64_32:
	s_cbranch_execnz .LBB64_34
.LBB64_33:
	s_mov_b32 s36, s2
.LBB64_34:
	s_cbranch_execnz .LBB64_36
.LBB64_35:
	s_mov_b32 s36, s33
.LBB64_36:
	s_mov_b64 s[10:11], 0
.LBB64_37:
	s_andn2_b64 vcc, exec, s[10:11]
	s_cbranch_vccnz .LBB64_39
; %bb.38:
	s_add_i32 s36, s0, -7
.LBB64_39:
	s_load_dwordx2 s[0:1], s[4:5], 0x0
	s_cmp_gt_u32 s36, 62
	s_cselect_b64 s[2:3], -1, 0
	v_cndmask_b32_e64 v1, 0, 1, s[2:3]
	s_waitcnt lgkmcnt(0)
	global_store_byte v0, v1, s[0:1]
	s_endpgm
	.section	.rodata,"a",@progbits
	.p2align	6, 0x0
	.amdhsa_kernel _Z21device_test_warp_maskILj15EEvP10TestStatus
		.amdhsa_group_segment_fixed_size 0
		.amdhsa_private_segment_fixed_size 0
		.amdhsa_kernarg_size 8
		.amdhsa_user_sgpr_count 6
		.amdhsa_user_sgpr_private_segment_buffer 1
		.amdhsa_user_sgpr_dispatch_ptr 0
		.amdhsa_user_sgpr_queue_ptr 0
		.amdhsa_user_sgpr_kernarg_segment_ptr 1
		.amdhsa_user_sgpr_dispatch_id 0
		.amdhsa_user_sgpr_flat_scratch_init 0
		.amdhsa_user_sgpr_kernarg_preload_length 0
		.amdhsa_user_sgpr_kernarg_preload_offset 0
		.amdhsa_user_sgpr_private_segment_size 0
		.amdhsa_uses_dynamic_stack 0
		.amdhsa_system_sgpr_private_segment_wavefront_offset 0
		.amdhsa_system_sgpr_workgroup_id_x 1
		.amdhsa_system_sgpr_workgroup_id_y 0
		.amdhsa_system_sgpr_workgroup_id_z 0
		.amdhsa_system_sgpr_workgroup_info 0
		.amdhsa_system_vgpr_workitem_id 0
		.amdhsa_next_free_vgpr 2
		.amdhsa_next_free_sgpr 38
		.amdhsa_accum_offset 4
		.amdhsa_reserve_vcc 1
		.amdhsa_reserve_flat_scratch 0
		.amdhsa_float_round_mode_32 0
		.amdhsa_float_round_mode_16_64 0
		.amdhsa_float_denorm_mode_32 3
		.amdhsa_float_denorm_mode_16_64 3
		.amdhsa_dx10_clamp 1
		.amdhsa_ieee_mode 1
		.amdhsa_fp16_overflow 0
		.amdhsa_tg_split 0
		.amdhsa_exception_fp_ieee_invalid_op 0
		.amdhsa_exception_fp_denorm_src 0
		.amdhsa_exception_fp_ieee_div_zero 0
		.amdhsa_exception_fp_ieee_overflow 0
		.amdhsa_exception_fp_ieee_underflow 0
		.amdhsa_exception_fp_ieee_inexact 0
		.amdhsa_exception_int_div_zero 0
	.end_amdhsa_kernel
	.section	.text._Z21device_test_warp_maskILj15EEvP10TestStatus,"axG",@progbits,_Z21device_test_warp_maskILj15EEvP10TestStatus,comdat
.Lfunc_end64:
	.size	_Z21device_test_warp_maskILj15EEvP10TestStatus, .Lfunc_end64-_Z21device_test_warp_maskILj15EEvP10TestStatus
                                        ; -- End function
	.section	.AMDGPU.csdata,"",@progbits
; Kernel info:
; codeLenInByte = 528
; NumSgprs: 42
; NumVgprs: 2
; NumAgprs: 0
; TotalNumVgprs: 2
; ScratchSize: 0
; MemoryBound: 0
; FloatMode: 240
; IeeeMode: 1
; LDSByteSize: 0 bytes/workgroup (compile time only)
; SGPRBlocks: 5
; VGPRBlocks: 0
; NumSGPRsForWavesPerEU: 42
; NumVGPRsForWavesPerEU: 2
; AccumOffset: 4
; Occupancy: 8
; WaveLimiterHint : 0
; COMPUTE_PGM_RSRC2:SCRATCH_EN: 0
; COMPUTE_PGM_RSRC2:USER_SGPR: 6
; COMPUTE_PGM_RSRC2:TRAP_HANDLER: 0
; COMPUTE_PGM_RSRC2:TGID_X_EN: 1
; COMPUTE_PGM_RSRC2:TGID_Y_EN: 0
; COMPUTE_PGM_RSRC2:TGID_Z_EN: 0
; COMPUTE_PGM_RSRC2:TIDIG_COMP_CNT: 0
; COMPUTE_PGM_RSRC3_GFX90A:ACCUM_OFFSET: 0
; COMPUTE_PGM_RSRC3_GFX90A:TG_SPLIT: 0
	.section	.text._Z21device_test_warp_maskILj16EEvP10TestStatus,"axG",@progbits,_Z21device_test_warp_maskILj16EEvP10TestStatus,comdat
	.protected	_Z21device_test_warp_maskILj16EEvP10TestStatus ; -- Begin function _Z21device_test_warp_maskILj16EEvP10TestStatus
	.globl	_Z21device_test_warp_maskILj16EEvP10TestStatus
	.p2align	8
	.type	_Z21device_test_warp_maskILj16EEvP10TestStatus,@function
_Z21device_test_warp_maskILj16EEvP10TestStatus: ; @_Z21device_test_warp_maskILj16EEvP10TestStatus
; %bb.0:
	v_mbcnt_lo_u32_b32 v1, -1, 0
	v_mbcnt_hi_u32_b32 v1, -1, v1
	v_and_b32_e32 v4, 0x70, v1
	s_mov_b64 s[0:1], 0xffff
	v_lshlrev_b64 v[2:3], v4, s[0:1]
	v_cmp_ne_u32_e32 vcc, 0, v4
	s_mov_b64 s[2:3], -1
                                        ; implicit-def: $sgpr8
	s_and_saveexec_b64 s[0:1], vcc
	s_cbranch_execnz .LBB65_3
; %bb.1:
	s_or_b64 exec, exec, s[0:1]
	v_mov_b32_e32 v5, s8
	s_and_saveexec_b64 s[6:7], s[2:3]
	s_cbranch_execnz .LBB65_8
.LBB65_2:
	s_or_b64 exec, exec, s[6:7]
	s_load_dwordx2 s[0:1], s[4:5], 0x0
	s_waitcnt lgkmcnt(0)
	global_store_byte v0, v5, s[0:1]
	s_endpgm
.LBB65_3:
	v_mov_b32_e32 v7, 0
	s_mov_b64 s[2:3], 0
	s_mov_b64 s[12:13], 0
                                        ; implicit-def: $sgpr6_sgpr7
                                        ; implicit-def: $sgpr10_sgpr11
                                        ; implicit-def: $sgpr8_sgpr9
	s_branch .LBB65_5
.LBB65_4:                               ;   in Loop: Header=BB65_5 Depth=1
	s_or_b64 exec, exec, s[14:15]
	s_xor_b64 s[14:15], s[8:9], -1
	s_and_b64 s[16:17], exec, s[10:11]
	s_or_b64 s[2:3], s[16:17], s[2:3]
	s_andn2_b64 s[6:7], s[6:7], exec
	s_and_b64 s[14:15], s[14:15], exec
	s_or_b64 s[6:7], s[6:7], s[14:15]
	s_andn2_b64 exec, exec, s[2:3]
	s_cbranch_execz .LBB65_7
.LBB65_5:                               ; =>This Inner Loop Header: Depth=1
	v_lshrrev_b64 v[8:9], s12, v[2:3]
	v_and_b32_e32 v6, 1, v8
	v_cmp_eq_u64_e32 vcc, 0, v[6:7]
	s_or_b64 s[8:9], s[8:9], exec
	s_or_b64 s[10:11], s[10:11], exec
	s_and_saveexec_b64 s[14:15], vcc
	s_cbranch_execz .LBB65_4
; %bb.6:                                ;   in Loop: Header=BB65_5 Depth=1
	s_add_u32 s12, s12, 1
	v_cmp_eq_u32_e32 vcc, s12, v4
	s_addc_u32 s13, s13, 0
	s_andn2_b64 s[10:11], s[10:11], exec
	s_and_b64 s[16:17], vcc, exec
	s_andn2_b64 s[8:9], s[8:9], exec
	s_or_b64 s[10:11], s[10:11], s[16:17]
	s_branch .LBB65_4
.LBB65_7:
	s_or_b64 exec, exec, s[2:3]
	s_mov_b32 s8, 0
	s_orn2_b64 s[2:3], s[6:7], exec
	s_or_b64 exec, exec, s[0:1]
	v_mov_b32_e32 v5, s8
	s_and_saveexec_b64 s[6:7], s[2:3]
	s_cbranch_execz .LBB65_2
.LBB65_8:
	v_cmp_gt_u32_e32 vcc, -16, v1
	s_mov_b64 s[2:3], -1
                                        ; implicit-def: $sgpr10
	s_and_saveexec_b64 s[0:1], vcc
	s_cbranch_execz .LBB65_38
; %bb.9:
	v_or_b32_e32 v5, 1, v4
	v_lshrrev_b64 v[6:7], v5, v[2:3]
	v_and_b32_e32 v5, 1, v6
	v_cmp_eq_u32_e32 vcc, 1, v5
	s_mov_b64 s[8:9], 0
	s_and_saveexec_b64 s[2:3], vcc
	s_cbranch_execz .LBB65_37
; %bb.10:
	v_or_b32_e32 v5, 2, v4
	v_lshrrev_b64 v[6:7], v5, v[2:3]
	v_and_b32_e32 v5, 1, v6
	v_cmp_eq_u32_e32 vcc, 1, v5
	s_mov_b64 s[10:11], 0
	;; [unrolled: 8-line block ×14, first 2 shown]
	s_and_saveexec_b64 s[34:35], vcc
; %bb.23:
	v_or_b32_e32 v1, 15, v1
	v_lshrrev_b64 v[6:7], v1, v[2:3]
	v_and_b32_e32 v1, 1, v6
	v_cmp_eq_u32_e32 vcc, 1, v1
	s_and_b64 s[36:37], vcc, exec
; %bb.24:
	s_or_b64 exec, exec, s[34:35]
	s_and_b64 s[34:35], s[36:37], exec
.LBB65_25:
	s_or_b64 exec, exec, s[30:31]
	s_and_b64 s[30:31], s[34:35], exec
.LBB65_26:
	s_or_b64 exec, exec, s[28:29]
	s_and_b64 s[28:29], s[30:31], exec
.LBB65_27:
	s_or_b64 exec, exec, s[26:27]
	s_and_b64 s[26:27], s[28:29], exec
.LBB65_28:
	s_or_b64 exec, exec, s[24:25]
	s_and_b64 s[24:25], s[26:27], exec
.LBB65_29:
	s_or_b64 exec, exec, s[22:23]
	s_and_b64 s[22:23], s[24:25], exec
.LBB65_30:
	s_or_b64 exec, exec, s[20:21]
	s_and_b64 s[20:21], s[22:23], exec
.LBB65_31:
	s_or_b64 exec, exec, s[18:19]
	s_and_b64 s[18:19], s[20:21], exec
.LBB65_32:
	s_or_b64 exec, exec, s[16:17]
	s_and_b64 s[16:17], s[18:19], exec
.LBB65_33:
	s_or_b64 exec, exec, s[14:15]
	s_and_b64 s[14:15], s[16:17], exec
.LBB65_34:
	s_or_b64 exec, exec, s[12:13]
	s_and_b64 s[12:13], s[14:15], exec
.LBB65_35:
	s_or_b64 exec, exec, s[10:11]
	s_and_b64 s[10:11], s[12:13], exec
.LBB65_36:
	s_or_b64 exec, exec, s[8:9]
	s_and_b64 s[8:9], s[10:11], exec
.LBB65_37:
	s_or_b64 exec, exec, s[2:3]
	s_mov_b32 s10, 0
	s_orn2_b64 s[2:3], s[8:9], exec
.LBB65_38:
	s_or_b64 exec, exec, s[0:1]
	v_mov_b32_e32 v5, s10
	s_and_saveexec_b64 s[8:9], s[2:3]
	s_cbranch_execz .LBB65_44
; %bb.39:
	v_add_u32_e32 v4, 16, v4
	v_cmp_gt_u32_e32 vcc, 64, v4
	s_mov_b64 s[0:1], -1
	s_and_saveexec_b64 s[10:11], vcc
	s_cbranch_execz .LBB65_43
; %bb.40:
	v_mov_b32_e32 v1, 0
	s_mov_b64 s[12:13], 0
                                        ; implicit-def: $sgpr14_sgpr15
.LBB65_41:                              ; =>This Inner Loop Header: Depth=1
	v_lshlrev_b64 v[6:7], v4, 1
	v_and_b32_e32 v7, v7, v3
	v_and_b32_e32 v6, v6, v2
	v_cmp_lt_u32_e32 vcc, 62, v4
	v_cmp_ne_u64_e64 s[2:3], 0, v[6:7]
	v_add_co_u32_e64 v4, s[0:1], 1, v4
	s_or_b64 s[2:3], vcc, s[2:3]
	v_addc_co_u32_e64 v1, s[0:1], 0, v1, s[0:1]
	s_and_b64 s[2:3], exec, s[2:3]
	v_cmp_eq_u64_e64 s[0:1], 0, v[6:7]
	s_or_b64 s[12:13], s[2:3], s[12:13]
	s_andn2_b64 s[2:3], s[14:15], exec
	s_and_b64 s[0:1], s[0:1], exec
	s_or_b64 s[14:15], s[2:3], s[0:1]
	s_andn2_b64 exec, exec, s[12:13]
	s_cbranch_execnz .LBB65_41
; %bb.42:
	s_or_b64 exec, exec, s[12:13]
	s_orn2_b64 s[0:1], s[14:15], exec
.LBB65_43:
	s_or_b64 exec, exec, s[10:11]
	v_cndmask_b32_e64 v5, 0, 1, s[0:1]
.LBB65_44:
	s_or_b64 exec, exec, s[8:9]
	s_or_b64 exec, exec, s[6:7]
	s_load_dwordx2 s[0:1], s[4:5], 0x0
	s_waitcnt lgkmcnt(0)
	global_store_byte v0, v5, s[0:1]
	s_endpgm
	.section	.rodata,"a",@progbits
	.p2align	6, 0x0
	.amdhsa_kernel _Z21device_test_warp_maskILj16EEvP10TestStatus
		.amdhsa_group_segment_fixed_size 0
		.amdhsa_private_segment_fixed_size 0
		.amdhsa_kernarg_size 8
		.amdhsa_user_sgpr_count 6
		.amdhsa_user_sgpr_private_segment_buffer 1
		.amdhsa_user_sgpr_dispatch_ptr 0
		.amdhsa_user_sgpr_queue_ptr 0
		.amdhsa_user_sgpr_kernarg_segment_ptr 1
		.amdhsa_user_sgpr_dispatch_id 0
		.amdhsa_user_sgpr_flat_scratch_init 0
		.amdhsa_user_sgpr_kernarg_preload_length 0
		.amdhsa_user_sgpr_kernarg_preload_offset 0
		.amdhsa_user_sgpr_private_segment_size 0
		.amdhsa_uses_dynamic_stack 0
		.amdhsa_system_sgpr_private_segment_wavefront_offset 0
		.amdhsa_system_sgpr_workgroup_id_x 1
		.amdhsa_system_sgpr_workgroup_id_y 0
		.amdhsa_system_sgpr_workgroup_id_z 0
		.amdhsa_system_sgpr_workgroup_info 0
		.amdhsa_system_vgpr_workitem_id 0
		.amdhsa_next_free_vgpr 10
		.amdhsa_next_free_sgpr 38
		.amdhsa_accum_offset 12
		.amdhsa_reserve_vcc 1
		.amdhsa_reserve_flat_scratch 0
		.amdhsa_float_round_mode_32 0
		.amdhsa_float_round_mode_16_64 0
		.amdhsa_float_denorm_mode_32 3
		.amdhsa_float_denorm_mode_16_64 3
		.amdhsa_dx10_clamp 1
		.amdhsa_ieee_mode 1
		.amdhsa_fp16_overflow 0
		.amdhsa_tg_split 0
		.amdhsa_exception_fp_ieee_invalid_op 0
		.amdhsa_exception_fp_denorm_src 0
		.amdhsa_exception_fp_ieee_div_zero 0
		.amdhsa_exception_fp_ieee_overflow 0
		.amdhsa_exception_fp_ieee_underflow 0
		.amdhsa_exception_fp_ieee_inexact 0
		.amdhsa_exception_int_div_zero 0
	.end_amdhsa_kernel
	.section	.text._Z21device_test_warp_maskILj16EEvP10TestStatus,"axG",@progbits,_Z21device_test_warp_maskILj16EEvP10TestStatus,comdat
.Lfunc_end65:
	.size	_Z21device_test_warp_maskILj16EEvP10TestStatus, .Lfunc_end65-_Z21device_test_warp_maskILj16EEvP10TestStatus
                                        ; -- End function
	.section	.AMDGPU.csdata,"",@progbits
; Kernel info:
; codeLenInByte = 1024
; NumSgprs: 42
; NumVgprs: 10
; NumAgprs: 0
; TotalNumVgprs: 10
; ScratchSize: 0
; MemoryBound: 0
; FloatMode: 240
; IeeeMode: 1
; LDSByteSize: 0 bytes/workgroup (compile time only)
; SGPRBlocks: 5
; VGPRBlocks: 1
; NumSGPRsForWavesPerEU: 42
; NumVGPRsForWavesPerEU: 10
; AccumOffset: 12
; Occupancy: 8
; WaveLimiterHint : 0
; COMPUTE_PGM_RSRC2:SCRATCH_EN: 0
; COMPUTE_PGM_RSRC2:USER_SGPR: 6
; COMPUTE_PGM_RSRC2:TRAP_HANDLER: 0
; COMPUTE_PGM_RSRC2:TGID_X_EN: 1
; COMPUTE_PGM_RSRC2:TGID_Y_EN: 0
; COMPUTE_PGM_RSRC2:TGID_Z_EN: 0
; COMPUTE_PGM_RSRC2:TIDIG_COMP_CNT: 0
; COMPUTE_PGM_RSRC3_GFX90A:ACCUM_OFFSET: 2
; COMPUTE_PGM_RSRC3_GFX90A:TG_SPLIT: 0
	.section	.text._Z21device_test_warp_maskILj17EEvP10TestStatus,"axG",@progbits,_Z21device_test_warp_maskILj17EEvP10TestStatus,comdat
	.protected	_Z21device_test_warp_maskILj17EEvP10TestStatus ; -- Begin function _Z21device_test_warp_maskILj17EEvP10TestStatus
	.globl	_Z21device_test_warp_maskILj17EEvP10TestStatus
	.p2align	8
	.type	_Z21device_test_warp_maskILj17EEvP10TestStatus,@function
_Z21device_test_warp_maskILj17EEvP10TestStatus: ; @_Z21device_test_warp_maskILj17EEvP10TestStatus
; %bb.0:
	s_mov_b32 s39, 17
	s_mov_b64 s[22:23], 25
	s_mov_b32 s13, 0
	s_branch .LBB66_3
.LBB66_1:                               ;   in Loop: Header=BB66_3 Depth=1
	s_add_i32 s38, s39, 6
	s_mov_b64 s[34:35], -1
                                        ; implicit-def: $sgpr39
                                        ; implicit-def: $sgpr22_sgpr23
.LBB66_2:                               ;   in Loop: Header=BB66_3 Depth=1
	s_and_b64 vcc, exec, s[36:37]
	s_cbranch_vccnz .LBB66_13
.LBB66_3:                               ; =>This Inner Loop Header: Depth=1
	s_mov_b64 s[0:1], s[22:23]
	s_add_u32 s33, s0, -7
	s_lshl_b64 s[2:3], 1, s33
	s_and_b32 s12, s2, 0x1fffe
	s_mov_b64 s[14:15], -1
	s_cmp_lg_u64 s[12:13], 0
	s_mov_b64 s[30:31], 0
	s_mov_b64 s[34:35], 0
	;; [unrolled: 1-line block ×7, first 2 shown]
	s_mov_b64 s[36:37], -1
                                        ; implicit-def: $sgpr22_sgpr23
                                        ; implicit-def: $sgpr38
                                        ; implicit-def: $sgpr2_sgpr3
                                        ; implicit-def: $sgpr6_sgpr7
                                        ; implicit-def: $sgpr8_sgpr9
                                        ; implicit-def: $sgpr10_sgpr11
                                        ; implicit-def: $sgpr18_sgpr19
	s_cbranch_scc1 .LBB66_2
; %bb.4:                                ;   in Loop: Header=BB66_3 Depth=1
	s_add_u32 s2, s0, -6
	s_lshl_b64 s[6:7], 1, s2
	s_and_b32 s12, s6, 0x1fffe
	s_mov_b64 s[16:17], -1
	s_mov_b64 s[14:15], 0
	s_cmp_eq_u64 s[12:13], 0
                                        ; implicit-def: $sgpr22_sgpr23
                                        ; implicit-def: $sgpr38
                                        ; implicit-def: $sgpr6_sgpr7
                                        ; implicit-def: $sgpr8_sgpr9
                                        ; implicit-def: $sgpr10_sgpr11
                                        ; implicit-def: $sgpr18_sgpr19
	s_cbranch_scc0 .LBB66_2
; %bb.5:                                ;   in Loop: Header=BB66_3 Depth=1
	s_add_u32 s6, s0, -5
	s_lshl_b64 s[8:9], 1, s6
	s_and_b32 s12, s8, 0x1fffe
	s_mov_b64 s[20:21], -1
	s_mov_b64 s[16:17], 0
	s_cmp_eq_u64 s[12:13], 0
                                        ; implicit-def: $sgpr22_sgpr23
                                        ; implicit-def: $sgpr38
                                        ; implicit-def: $sgpr8_sgpr9
                                        ; implicit-def: $sgpr10_sgpr11
                                        ; implicit-def: $sgpr18_sgpr19
	s_cbranch_scc0 .LBB66_2
; %bb.6:                                ;   in Loop: Header=BB66_3 Depth=1
	s_add_u32 s8, s0, -4
	s_lshl_b64 s[10:11], 1, s8
	s_and_b32 s12, s10, 0x1fffe
	s_mov_b64 s[24:25], -1
	s_mov_b64 s[20:21], 0
	s_cmp_eq_u64 s[12:13], 0
                                        ; implicit-def: $sgpr22_sgpr23
                                        ; implicit-def: $sgpr38
                                        ; implicit-def: $sgpr10_sgpr11
                                        ; implicit-def: $sgpr18_sgpr19
	s_cbranch_scc0 .LBB66_2
; %bb.7:                                ;   in Loop: Header=BB66_3 Depth=1
	s_add_u32 s10, s0, -3
	s_lshl_b64 s[18:19], 1, s10
	s_and_b32 s12, s18, 0x1fffe
	s_mov_b64 s[28:29], -1
	s_mov_b64 s[24:25], 0
	s_cmp_eq_u64 s[12:13], 0
                                        ; implicit-def: $sgpr22_sgpr23
                                        ; implicit-def: $sgpr38
                                        ; implicit-def: $sgpr18_sgpr19
	s_cbranch_scc0 .LBB66_2
; %bb.8:                                ;   in Loop: Header=BB66_3 Depth=1
	s_add_u32 s18, s0, -2
	s_lshl_b64 s[22:23], 1, s18
	s_and_b32 s12, s22, 0x1fffe
	s_mov_b64 s[26:27], -1
	s_mov_b64 s[28:29], 0
	s_cmp_eq_u64 s[12:13], 0
                                        ; implicit-def: $sgpr22_sgpr23
                                        ; implicit-def: $sgpr38
	s_cbranch_scc0 .LBB66_2
; %bb.9:                                ;   in Loop: Header=BB66_3 Depth=1
	s_cmpk_lg_i32 s0, 0x41
	s_mov_b64 s[26:27], 0
	s_cbranch_scc0 .LBB66_1
; %bb.10:                               ;   in Loop: Header=BB66_3 Depth=1
	s_add_i32 s3, s0, -1
	s_lshl_b64 s[22:23], 1, s3
	s_and_b32 s12, s22, 0x1fffe
	s_mov_b64 s[30:31], -1
	s_cmp_eq_u64 s[12:13], 0
                                        ; implicit-def: $sgpr22_sgpr23
	s_cbranch_scc1 .LBB66_12
; %bb.11:                               ;   in Loop: Header=BB66_3 Depth=1
                                        ; implicit-def: $sgpr38
	s_branch .LBB66_2
.LBB66_12:                              ;   in Loop: Header=BB66_3 Depth=1
	s_lshl_b64 s[22:23], 1, s0
	s_add_i32 s39, s39, 8
	s_and_b32 s12, s22, 0x1fffe
	s_cmp_lg_u64 s[12:13], 0
	s_cselect_b64 s[36:37], -1, 0
	s_add_u32 s22, s0, 8
	s_addc_u32 s23, s1, 0
	s_mov_b64 s[30:31], 0
                                        ; implicit-def: $sgpr38
	s_branch .LBB66_2
.LBB66_13:
	s_mov_b64 s[12:13], -1
	s_and_b64 vcc, exec, s[14:15]
	s_cbranch_vccnz .LBB66_43
; %bb.14:
	s_xor_b64 s[12:13], s[16:17], -1
	s_andn2_b64 vcc, exec, s[12:13]
	s_cbranch_vccnz .LBB66_22
; %bb.15:
	s_xor_b64 s[12:13], s[20:21], -1
	s_andn2_b64 vcc, exec, s[12:13]
	;; [unrolled: 4-line block ×6, first 2 shown]
	s_cbranch_vccnz .LBB66_30
; %bb.20:
	s_xor_b64 s[12:13], s[30:31], -1
	s_and_b64 vcc, exec, s[12:13]
	s_cbranch_vccz .LBB66_27
; %bb.21:
	s_add_i32 s38, s22, -9
	s_mov_b64 s[12:13], 0
	s_branch .LBB66_28
.LBB66_22:
                                        ; implicit-def: $sgpr38
	s_branch .LBB66_41
.LBB66_23:
                                        ; implicit-def: $sgpr38
	s_branch .LBB66_39
.LBB66_24:
                                        ; implicit-def: $sgpr38
	s_branch .LBB66_37
.LBB66_25:
	s_mov_b64 s[10:11], -1
                                        ; implicit-def: $sgpr38
	s_branch .LBB66_34
.LBB66_26:
	s_mov_b64 s[12:13], -1
                                        ; implicit-def: $sgpr38
	s_branch .LBB66_31
.LBB66_27:
	s_mov_b64 s[12:13], -1
                                        ; implicit-def: $sgpr38
.LBB66_28:
	s_andn2_b64 vcc, exec, s[12:13]
	s_cbranch_vccnz .LBB66_30
; %bb.29:
	s_mov_b32 s38, s18
.LBB66_30:
	s_mov_b64 s[12:13], 0
.LBB66_31:
	s_andn2_b64 vcc, exec, s[12:13]
	s_cbranch_vccnz .LBB66_33
; %bb.32:
	s_mov_b32 s38, s10
.LBB66_33:
	s_mov_b64 s[10:11], 0
.LBB66_34:
	s_andn2_b64 vcc, exec, s[10:11]
	s_cbranch_vccnz .LBB66_36
; %bb.35:
	s_mov_b32 s38, s8
.LBB66_36:
	s_cbranch_execnz .LBB66_38
.LBB66_37:
	s_mov_b32 s38, s6
.LBB66_38:
	s_cbranch_execnz .LBB66_40
.LBB66_39:
	s_mov_b32 s38, s2
.LBB66_40:
	s_cbranch_execnz .LBB66_42
.LBB66_41:
	s_mov_b32 s38, s33
.LBB66_42:
	s_mov_b64 s[12:13], 0
.LBB66_43:
	s_andn2_b64 vcc, exec, s[12:13]
	s_cbranch_vccnz .LBB66_45
; %bb.44:
	s_add_i32 s38, s0, -8
.LBB66_45:
	s_load_dwordx2 s[0:1], s[4:5], 0x0
	s_cmp_gt_u32 s38, 62
	s_cselect_b64 s[2:3], -1, 0
	v_cndmask_b32_e64 v1, 0, 1, s[2:3]
	s_waitcnt lgkmcnt(0)
	global_store_byte v0, v1, s[0:1]
	s_endpgm
	.section	.rodata,"a",@progbits
	.p2align	6, 0x0
	.amdhsa_kernel _Z21device_test_warp_maskILj17EEvP10TestStatus
		.amdhsa_group_segment_fixed_size 0
		.amdhsa_private_segment_fixed_size 0
		.amdhsa_kernarg_size 8
		.amdhsa_user_sgpr_count 6
		.amdhsa_user_sgpr_private_segment_buffer 1
		.amdhsa_user_sgpr_dispatch_ptr 0
		.amdhsa_user_sgpr_queue_ptr 0
		.amdhsa_user_sgpr_kernarg_segment_ptr 1
		.amdhsa_user_sgpr_dispatch_id 0
		.amdhsa_user_sgpr_flat_scratch_init 0
		.amdhsa_user_sgpr_kernarg_preload_length 0
		.amdhsa_user_sgpr_kernarg_preload_offset 0
		.amdhsa_user_sgpr_private_segment_size 0
		.amdhsa_uses_dynamic_stack 0
		.amdhsa_system_sgpr_private_segment_wavefront_offset 0
		.amdhsa_system_sgpr_workgroup_id_x 1
		.amdhsa_system_sgpr_workgroup_id_y 0
		.amdhsa_system_sgpr_workgroup_id_z 0
		.amdhsa_system_sgpr_workgroup_info 0
		.amdhsa_system_vgpr_workitem_id 0
		.amdhsa_next_free_vgpr 2
		.amdhsa_next_free_sgpr 40
		.amdhsa_accum_offset 4
		.amdhsa_reserve_vcc 1
		.amdhsa_reserve_flat_scratch 0
		.amdhsa_float_round_mode_32 0
		.amdhsa_float_round_mode_16_64 0
		.amdhsa_float_denorm_mode_32 3
		.amdhsa_float_denorm_mode_16_64 3
		.amdhsa_dx10_clamp 1
		.amdhsa_ieee_mode 1
		.amdhsa_fp16_overflow 0
		.amdhsa_tg_split 0
		.amdhsa_exception_fp_ieee_invalid_op 0
		.amdhsa_exception_fp_denorm_src 0
		.amdhsa_exception_fp_ieee_div_zero 0
		.amdhsa_exception_fp_ieee_overflow 0
		.amdhsa_exception_fp_ieee_underflow 0
		.amdhsa_exception_fp_ieee_inexact 0
		.amdhsa_exception_int_div_zero 0
	.end_amdhsa_kernel
	.section	.text._Z21device_test_warp_maskILj17EEvP10TestStatus,"axG",@progbits,_Z21device_test_warp_maskILj17EEvP10TestStatus,comdat
.Lfunc_end66:
	.size	_Z21device_test_warp_maskILj17EEvP10TestStatus, .Lfunc_end66-_Z21device_test_warp_maskILj17EEvP10TestStatus
                                        ; -- End function
	.section	.AMDGPU.csdata,"",@progbits
; Kernel info:
; codeLenInByte = 604
; NumSgprs: 44
; NumVgprs: 2
; NumAgprs: 0
; TotalNumVgprs: 2
; ScratchSize: 0
; MemoryBound: 0
; FloatMode: 240
; IeeeMode: 1
; LDSByteSize: 0 bytes/workgroup (compile time only)
; SGPRBlocks: 5
; VGPRBlocks: 0
; NumSGPRsForWavesPerEU: 44
; NumVGPRsForWavesPerEU: 2
; AccumOffset: 4
; Occupancy: 8
; WaveLimiterHint : 0
; COMPUTE_PGM_RSRC2:SCRATCH_EN: 0
; COMPUTE_PGM_RSRC2:USER_SGPR: 6
; COMPUTE_PGM_RSRC2:TRAP_HANDLER: 0
; COMPUTE_PGM_RSRC2:TGID_X_EN: 1
; COMPUTE_PGM_RSRC2:TGID_Y_EN: 0
; COMPUTE_PGM_RSRC2:TGID_Z_EN: 0
; COMPUTE_PGM_RSRC2:TIDIG_COMP_CNT: 0
; COMPUTE_PGM_RSRC3_GFX90A:ACCUM_OFFSET: 0
; COMPUTE_PGM_RSRC3_GFX90A:TG_SPLIT: 0
	.section	.text._Z21device_test_warp_maskILj18EEvP10TestStatus,"axG",@progbits,_Z21device_test_warp_maskILj18EEvP10TestStatus,comdat
	.protected	_Z21device_test_warp_maskILj18EEvP10TestStatus ; -- Begin function _Z21device_test_warp_maskILj18EEvP10TestStatus
	.globl	_Z21device_test_warp_maskILj18EEvP10TestStatus
	.p2align	8
	.type	_Z21device_test_warp_maskILj18EEvP10TestStatus,@function
_Z21device_test_warp_maskILj18EEvP10TestStatus: ; @_Z21device_test_warp_maskILj18EEvP10TestStatus
; %bb.0:
	s_mov_b32 s12, 18
	s_mov_b64 s[6:7], 19
	s_mov_b32 s3, 0
	s_branch .LBB67_3
.LBB67_1:                               ;   in Loop: Header=BB67_3 Depth=1
	s_mov_b64 s[10:11], 0
.LBB67_2:                               ;   in Loop: Header=BB67_3 Depth=1
	s_and_b64 vcc, exec, s[8:9]
	s_cbranch_vccnz .LBB67_6
.LBB67_3:                               ; =>This Inner Loop Header: Depth=1
	s_mov_b64 s[0:1], s[6:7]
	s_lshl_b64 s[6:7], 1, s0
	s_and_b32 s2, s6, 0x2aaaa
	s_mov_b64 s[10:11], -1
	s_cmp_lg_u64 s[2:3], 0
	s_mov_b64 s[8:9], -1
                                        ; implicit-def: $sgpr6_sgpr7
                                        ; implicit-def: $sgpr13
	s_cbranch_scc1 .LBB67_2
; %bb.4:                                ;   in Loop: Header=BB67_3 Depth=1
	s_cmp_lg_u32 s0, 63
	s_mov_b32 s13, 63
                                        ; implicit-def: $sgpr6_sgpr7
	s_cbranch_scc0 .LBB67_1
; %bb.5:                                ;   in Loop: Header=BB67_3 Depth=1
	s_add_i32 s2, s0, 1
	s_lshl_b64 s[6:7], 1, s2
	s_or_b32 s13, s12, 1
	s_and_b32 s2, s6, 0x15554
	s_cmp_lg_u64 s[2:3], 0
	s_cselect_b64 s[8:9], -1, 0
	s_add_u32 s6, s0, 2
	s_addc_u32 s7, s1, 0
	s_add_i32 s12, s12, 2
	s_branch .LBB67_1
.LBB67_6:
	s_and_b64 vcc, exec, s[10:11]
	s_cbranch_vccz .LBB67_8
; %bb.7:
	s_add_i32 s13, s0, -1
.LBB67_8:
	s_load_dwordx2 s[0:1], s[4:5], 0x0
	s_cmp_gt_u32 s13, 62
	s_cselect_b64 s[2:3], -1, 0
	v_cndmask_b32_e64 v1, 0, 1, s[2:3]
	s_waitcnt lgkmcnt(0)
	global_store_byte v0, v1, s[0:1]
	s_endpgm
	.section	.rodata,"a",@progbits
	.p2align	6, 0x0
	.amdhsa_kernel _Z21device_test_warp_maskILj18EEvP10TestStatus
		.amdhsa_group_segment_fixed_size 0
		.amdhsa_private_segment_fixed_size 0
		.amdhsa_kernarg_size 8
		.amdhsa_user_sgpr_count 6
		.amdhsa_user_sgpr_private_segment_buffer 1
		.amdhsa_user_sgpr_dispatch_ptr 0
		.amdhsa_user_sgpr_queue_ptr 0
		.amdhsa_user_sgpr_kernarg_segment_ptr 1
		.amdhsa_user_sgpr_dispatch_id 0
		.amdhsa_user_sgpr_flat_scratch_init 0
		.amdhsa_user_sgpr_kernarg_preload_length 0
		.amdhsa_user_sgpr_kernarg_preload_offset 0
		.amdhsa_user_sgpr_private_segment_size 0
		.amdhsa_uses_dynamic_stack 0
		.amdhsa_system_sgpr_private_segment_wavefront_offset 0
		.amdhsa_system_sgpr_workgroup_id_x 1
		.amdhsa_system_sgpr_workgroup_id_y 0
		.amdhsa_system_sgpr_workgroup_id_z 0
		.amdhsa_system_sgpr_workgroup_info 0
		.amdhsa_system_vgpr_workitem_id 0
		.amdhsa_next_free_vgpr 2
		.amdhsa_next_free_sgpr 14
		.amdhsa_accum_offset 4
		.amdhsa_reserve_vcc 1
		.amdhsa_reserve_flat_scratch 0
		.amdhsa_float_round_mode_32 0
		.amdhsa_float_round_mode_16_64 0
		.amdhsa_float_denorm_mode_32 3
		.amdhsa_float_denorm_mode_16_64 3
		.amdhsa_dx10_clamp 1
		.amdhsa_ieee_mode 1
		.amdhsa_fp16_overflow 0
		.amdhsa_tg_split 0
		.amdhsa_exception_fp_ieee_invalid_op 0
		.amdhsa_exception_fp_denorm_src 0
		.amdhsa_exception_fp_ieee_div_zero 0
		.amdhsa_exception_fp_ieee_overflow 0
		.amdhsa_exception_fp_ieee_underflow 0
		.amdhsa_exception_fp_ieee_inexact 0
		.amdhsa_exception_int_div_zero 0
	.end_amdhsa_kernel
	.section	.text._Z21device_test_warp_maskILj18EEvP10TestStatus,"axG",@progbits,_Z21device_test_warp_maskILj18EEvP10TestStatus,comdat
.Lfunc_end67:
	.size	_Z21device_test_warp_maskILj18EEvP10TestStatus, .Lfunc_end67-_Z21device_test_warp_maskILj18EEvP10TestStatus
                                        ; -- End function
	.section	.AMDGPU.csdata,"",@progbits
; Kernel info:
; codeLenInByte = 168
; NumSgprs: 18
; NumVgprs: 2
; NumAgprs: 0
; TotalNumVgprs: 2
; ScratchSize: 0
; MemoryBound: 0
; FloatMode: 240
; IeeeMode: 1
; LDSByteSize: 0 bytes/workgroup (compile time only)
; SGPRBlocks: 2
; VGPRBlocks: 0
; NumSGPRsForWavesPerEU: 18
; NumVGPRsForWavesPerEU: 2
; AccumOffset: 4
; Occupancy: 8
; WaveLimiterHint : 0
; COMPUTE_PGM_RSRC2:SCRATCH_EN: 0
; COMPUTE_PGM_RSRC2:USER_SGPR: 6
; COMPUTE_PGM_RSRC2:TRAP_HANDLER: 0
; COMPUTE_PGM_RSRC2:TGID_X_EN: 1
; COMPUTE_PGM_RSRC2:TGID_Y_EN: 0
; COMPUTE_PGM_RSRC2:TGID_Z_EN: 0
; COMPUTE_PGM_RSRC2:TIDIG_COMP_CNT: 0
; COMPUTE_PGM_RSRC3_GFX90A:ACCUM_OFFSET: 0
; COMPUTE_PGM_RSRC3_GFX90A:TG_SPLIT: 0
	.section	.text._Z21device_test_warp_maskILj19EEvP10TestStatus,"axG",@progbits,_Z21device_test_warp_maskILj19EEvP10TestStatus,comdat
	.protected	_Z21device_test_warp_maskILj19EEvP10TestStatus ; -- Begin function _Z21device_test_warp_maskILj19EEvP10TestStatus
	.globl	_Z21device_test_warp_maskILj19EEvP10TestStatus
	.p2align	8
	.type	_Z21device_test_warp_maskILj19EEvP10TestStatus,@function
_Z21device_test_warp_maskILj19EEvP10TestStatus: ; @_Z21device_test_warp_maskILj19EEvP10TestStatus
; %bb.0:
	s_mov_b32 s45, 19
	s_mov_b64 s[38:39], 28
	s_mov_b32 s13, 0
	s_branch .LBB68_3
.LBB68_1:                               ;   in Loop: Header=BB68_3 Depth=1
	s_mov_b64 s[36:37], 0
.LBB68_2:                               ;   in Loop: Header=BB68_3 Depth=1
	s_and_b64 vcc, exec, s[42:43]
	s_cbranch_vccnz .LBB68_13
.LBB68_3:                               ; =>This Inner Loop Header: Depth=1
	s_mov_b64 s[0:1], s[38:39]
	s_add_u32 s33, s0, -8
	s_lshl_b64 s[2:3], 1, s33
	s_and_b32 s12, s2, 0x7fffe
	s_cmp_lg_u64 s[12:13], 0
	s_mov_b64 s[34:35], 0
	s_mov_b64 s[36:37], 0
	;; [unrolled: 1-line block ×8, first 2 shown]
	s_mov_b64 s[18:19], -1
	s_mov_b64 s[42:43], -1
                                        ; implicit-def: $sgpr38_sgpr39
                                        ; implicit-def: $sgpr44
                                        ; implicit-def: $sgpr2_sgpr3
                                        ; implicit-def: $sgpr6_sgpr7
                                        ; implicit-def: $sgpr8_sgpr9
                                        ; implicit-def: $sgpr10_sgpr11
                                        ; implicit-def: $sgpr14_sgpr15
                                        ; implicit-def: $sgpr26_sgpr27
                                        ; implicit-def: $sgpr40_sgpr41
	s_cbranch_scc1 .LBB68_2
; %bb.4:                                ;   in Loop: Header=BB68_3 Depth=1
	s_add_u32 s2, s0, -7
	s_lshl_b64 s[6:7], 1, s2
	s_and_b32 s12, s6, 0x7fffe
	s_mov_b64 s[16:17], -1
	s_mov_b64 s[18:19], 0
	s_cmp_eq_u64 s[12:13], 0
                                        ; implicit-def: $sgpr38_sgpr39
                                        ; implicit-def: $sgpr44
                                        ; implicit-def: $sgpr6_sgpr7
                                        ; implicit-def: $sgpr8_sgpr9
                                        ; implicit-def: $sgpr10_sgpr11
                                        ; implicit-def: $sgpr14_sgpr15
                                        ; implicit-def: $sgpr26_sgpr27
                                        ; implicit-def: $sgpr40_sgpr41
	s_cbranch_scc0 .LBB68_2
; %bb.5:                                ;   in Loop: Header=BB68_3 Depth=1
	s_add_u32 s6, s0, -6
	s_lshl_b64 s[8:9], 1, s6
	s_and_b32 s12, s8, 0x7fffe
	s_mov_b64 s[20:21], -1
	s_mov_b64 s[16:17], 0
	s_cmp_eq_u64 s[12:13], 0
                                        ; implicit-def: $sgpr38_sgpr39
                                        ; implicit-def: $sgpr44
                                        ; implicit-def: $sgpr8_sgpr9
                                        ; implicit-def: $sgpr10_sgpr11
                                        ; implicit-def: $sgpr14_sgpr15
                                        ; implicit-def: $sgpr26_sgpr27
                                        ; implicit-def: $sgpr40_sgpr41
	s_cbranch_scc0 .LBB68_2
; %bb.6:                                ;   in Loop: Header=BB68_3 Depth=1
	s_add_u32 s8, s0, -5
	s_lshl_b64 s[10:11], 1, s8
	s_and_b32 s12, s10, 0x7fffe
	s_mov_b64 s[22:23], -1
	s_mov_b64 s[20:21], 0
	s_cmp_eq_u64 s[12:13], 0
                                        ; implicit-def: $sgpr38_sgpr39
                                        ; implicit-def: $sgpr44
                                        ; implicit-def: $sgpr10_sgpr11
                                        ; implicit-def: $sgpr14_sgpr15
                                        ; implicit-def: $sgpr26_sgpr27
                                        ; implicit-def: $sgpr40_sgpr41
	s_cbranch_scc0 .LBB68_2
; %bb.7:                                ;   in Loop: Header=BB68_3 Depth=1
	s_add_u32 s10, s0, -4
	s_lshl_b64 s[14:15], 1, s10
	s_and_b32 s12, s14, 0x7fffe
	s_mov_b64 s[24:25], -1
	s_mov_b64 s[22:23], 0
	s_cmp_eq_u64 s[12:13], 0
                                        ; implicit-def: $sgpr38_sgpr39
                                        ; implicit-def: $sgpr44
                                        ; implicit-def: $sgpr14_sgpr15
                                        ; implicit-def: $sgpr26_sgpr27
                                        ; implicit-def: $sgpr40_sgpr41
	s_cbranch_scc0 .LBB68_2
; %bb.8:                                ;   in Loop: Header=BB68_3 Depth=1
	s_add_u32 s14, s0, -3
	s_lshl_b64 s[24:25], 1, s14
	s_and_b32 s12, s24, 0x7fffe
	s_mov_b64 s[28:29], -1
	s_mov_b64 s[24:25], 0
	s_cmp_eq_u64 s[12:13], 0
                                        ; implicit-def: $sgpr38_sgpr39
                                        ; implicit-def: $sgpr44
                                        ; implicit-def: $sgpr26_sgpr27
                                        ; implicit-def: $sgpr40_sgpr41
	s_cbranch_scc0 .LBB68_2
; %bb.9:                                ;   in Loop: Header=BB68_3 Depth=1
	s_add_u32 s26, s0, -2
	s_lshl_b64 s[28:29], 1, s26
	s_and_b32 s12, s28, 0x7fffe
	s_mov_b64 s[30:31], -1
	s_mov_b64 s[28:29], 0
	s_cmp_eq_u64 s[12:13], 0
                                        ; implicit-def: $sgpr38_sgpr39
                                        ; implicit-def: $sgpr44
                                        ; implicit-def: $sgpr40_sgpr41
	s_cbranch_scc0 .LBB68_2
; %bb.10:                               ;   in Loop: Header=BB68_3 Depth=1
	s_add_u32 s40, s0, -1
	s_lshl_b64 s[30:31], 1, s40
	s_and_b32 s12, s30, 0x7fffe
	s_mov_b64 s[36:37], -1
	s_mov_b64 s[30:31], 0
	s_cmp_eq_u64 s[12:13], 0
                                        ; implicit-def: $sgpr38_sgpr39
                                        ; implicit-def: $sgpr44
	s_cbranch_scc0 .LBB68_2
; %bb.11:                               ;   in Loop: Header=BB68_3 Depth=1
	s_mov_b64 s[34:35], -1
	s_cmp_lg_u32 s0, 64
                                        ; implicit-def: $sgpr38_sgpr39
                                        ; implicit-def: $sgpr44
	s_cbranch_scc0 .LBB68_1
; %bb.12:                               ;   in Loop: Header=BB68_3 Depth=1
	s_lshl_b64 s[34:35], 1, s0
	s_add_i32 s44, s45, 8
	s_and_b32 s12, s34, 0x7fffe
	s_cmp_lg_u64 s[12:13], 0
	s_cselect_b64 s[42:43], -1, 0
	s_add_u32 s38, s0, 9
	s_addc_u32 s39, s1, 0
	s_add_i32 s45, s45, 9
	s_mov_b64 s[34:35], 0
	s_branch .LBB68_1
.LBB68_13:
	s_mov_b64 s[12:13], -1
	s_and_b64 vcc, exec, s[18:19]
	s_cbranch_vccnz .LBB68_49
; %bb.14:
	s_xor_b64 s[12:13], s[16:17], -1
	s_andn2_b64 vcc, exec, s[12:13]
	s_cbranch_vccnz .LBB68_24
; %bb.15:
	s_xor_b64 s[12:13], s[20:21], -1
	s_andn2_b64 vcc, exec, s[12:13]
	;; [unrolled: 4-line block ×7, first 2 shown]
	s_cbranch_vccnz .LBB68_30
; %bb.21:
	s_and_b64 vcc, exec, s[34:35]
	s_cbranch_vccz .LBB68_23
; %bb.22:
	s_mov_b32 s44, s40
.LBB68_23:
	s_mov_b64 s[12:13], 0
	s_branch .LBB68_31
.LBB68_24:
                                        ; implicit-def: $sgpr44
	s_branch .LBB68_47
.LBB68_25:
                                        ; implicit-def: $sgpr44
	s_branch .LBB68_45
.LBB68_26:
                                        ; implicit-def: $sgpr44
	s_branch .LBB68_43
.LBB68_27:
	s_mov_b64 s[10:11], -1
                                        ; implicit-def: $sgpr44
	s_branch .LBB68_40
.LBB68_28:
	s_mov_b64 s[12:13], -1
                                        ; implicit-def: $sgpr44
	s_branch .LBB68_37
.LBB68_29:
	s_mov_b64 s[12:13], -1
                                        ; implicit-def: $sgpr44
	s_branch .LBB68_34
.LBB68_30:
	s_mov_b64 s[12:13], -1
                                        ; implicit-def: $sgpr44
.LBB68_31:
	s_andn2_b64 vcc, exec, s[12:13]
	s_cbranch_vccnz .LBB68_33
; %bb.32:
	s_mov_b32 s44, s26
.LBB68_33:
	s_mov_b64 s[12:13], 0
.LBB68_34:
	s_andn2_b64 vcc, exec, s[12:13]
	s_cbranch_vccnz .LBB68_36
; %bb.35:
	s_mov_b32 s44, s14
.LBB68_36:
	s_mov_b64 s[12:13], 0
.LBB68_37:
	s_andn2_b64 vcc, exec, s[12:13]
	s_cbranch_vccnz .LBB68_39
; %bb.38:
	s_mov_b32 s44, s10
.LBB68_39:
	s_mov_b64 s[10:11], 0
.LBB68_40:
	s_andn2_b64 vcc, exec, s[10:11]
	s_cbranch_vccnz .LBB68_42
; %bb.41:
	s_mov_b32 s44, s8
.LBB68_42:
	s_cbranch_execnz .LBB68_44
.LBB68_43:
	s_mov_b32 s44, s6
.LBB68_44:
	s_cbranch_execnz .LBB68_46
.LBB68_45:
	s_mov_b32 s44, s2
.LBB68_46:
	s_cbranch_execnz .LBB68_48
.LBB68_47:
	s_mov_b32 s44, s33
.LBB68_48:
	s_mov_b64 s[12:13], 0
.LBB68_49:
	s_andn2_b64 vcc, exec, s[12:13]
	s_cbranch_vccnz .LBB68_51
; %bb.50:
	s_add_i32 s44, s0, -9
.LBB68_51:
	s_load_dwordx2 s[0:1], s[4:5], 0x0
	s_cmp_gt_u32 s44, 62
	s_cselect_b64 s[2:3], -1, 0
	v_cndmask_b32_e64 v1, 0, 1, s[2:3]
	s_waitcnt lgkmcnt(0)
	global_store_byte v0, v1, s[0:1]
	s_endpgm
	.section	.rodata,"a",@progbits
	.p2align	6, 0x0
	.amdhsa_kernel _Z21device_test_warp_maskILj19EEvP10TestStatus
		.amdhsa_group_segment_fixed_size 0
		.amdhsa_private_segment_fixed_size 0
		.amdhsa_kernarg_size 8
		.amdhsa_user_sgpr_count 6
		.amdhsa_user_sgpr_private_segment_buffer 1
		.amdhsa_user_sgpr_dispatch_ptr 0
		.amdhsa_user_sgpr_queue_ptr 0
		.amdhsa_user_sgpr_kernarg_segment_ptr 1
		.amdhsa_user_sgpr_dispatch_id 0
		.amdhsa_user_sgpr_flat_scratch_init 0
		.amdhsa_user_sgpr_kernarg_preload_length 0
		.amdhsa_user_sgpr_kernarg_preload_offset 0
		.amdhsa_user_sgpr_private_segment_size 0
		.amdhsa_uses_dynamic_stack 0
		.amdhsa_system_sgpr_private_segment_wavefront_offset 0
		.amdhsa_system_sgpr_workgroup_id_x 1
		.amdhsa_system_sgpr_workgroup_id_y 0
		.amdhsa_system_sgpr_workgroup_id_z 0
		.amdhsa_system_sgpr_workgroup_info 0
		.amdhsa_system_vgpr_workitem_id 0
		.amdhsa_next_free_vgpr 2
		.amdhsa_next_free_sgpr 46
		.amdhsa_accum_offset 4
		.amdhsa_reserve_vcc 1
		.amdhsa_reserve_flat_scratch 0
		.amdhsa_float_round_mode_32 0
		.amdhsa_float_round_mode_16_64 0
		.amdhsa_float_denorm_mode_32 3
		.amdhsa_float_denorm_mode_16_64 3
		.amdhsa_dx10_clamp 1
		.amdhsa_ieee_mode 1
		.amdhsa_fp16_overflow 0
		.amdhsa_tg_split 0
		.amdhsa_exception_fp_ieee_invalid_op 0
		.amdhsa_exception_fp_denorm_src 0
		.amdhsa_exception_fp_ieee_div_zero 0
		.amdhsa_exception_fp_ieee_overflow 0
		.amdhsa_exception_fp_ieee_underflow 0
		.amdhsa_exception_fp_ieee_inexact 0
		.amdhsa_exception_int_div_zero 0
	.end_amdhsa_kernel
	.section	.text._Z21device_test_warp_maskILj19EEvP10TestStatus,"axG",@progbits,_Z21device_test_warp_maskILj19EEvP10TestStatus,comdat
.Lfunc_end68:
	.size	_Z21device_test_warp_maskILj19EEvP10TestStatus, .Lfunc_end68-_Z21device_test_warp_maskILj19EEvP10TestStatus
                                        ; -- End function
	.section	.AMDGPU.csdata,"",@progbits
; Kernel info:
; codeLenInByte = 672
; NumSgprs: 50
; NumVgprs: 2
; NumAgprs: 0
; TotalNumVgprs: 2
; ScratchSize: 0
; MemoryBound: 0
; FloatMode: 240
; IeeeMode: 1
; LDSByteSize: 0 bytes/workgroup (compile time only)
; SGPRBlocks: 6
; VGPRBlocks: 0
; NumSGPRsForWavesPerEU: 50
; NumVGPRsForWavesPerEU: 2
; AccumOffset: 4
; Occupancy: 8
; WaveLimiterHint : 0
; COMPUTE_PGM_RSRC2:SCRATCH_EN: 0
; COMPUTE_PGM_RSRC2:USER_SGPR: 6
; COMPUTE_PGM_RSRC2:TRAP_HANDLER: 0
; COMPUTE_PGM_RSRC2:TGID_X_EN: 1
; COMPUTE_PGM_RSRC2:TGID_Y_EN: 0
; COMPUTE_PGM_RSRC2:TGID_Z_EN: 0
; COMPUTE_PGM_RSRC2:TIDIG_COMP_CNT: 0
; COMPUTE_PGM_RSRC3_GFX90A:ACCUM_OFFSET: 0
; COMPUTE_PGM_RSRC3_GFX90A:TG_SPLIT: 0
	.section	.text._Z21device_test_warp_maskILj20EEvP10TestStatus,"axG",@progbits,_Z21device_test_warp_maskILj20EEvP10TestStatus,comdat
	.protected	_Z21device_test_warp_maskILj20EEvP10TestStatus ; -- Begin function _Z21device_test_warp_maskILj20EEvP10TestStatus
	.globl	_Z21device_test_warp_maskILj20EEvP10TestStatus
	.p2align	8
	.type	_Z21device_test_warp_maskILj20EEvP10TestStatus,@function
_Z21device_test_warp_maskILj20EEvP10TestStatus: ; @_Z21device_test_warp_maskILj20EEvP10TestStatus
; %bb.0:
	s_mov_b32 s53, 20
	s_mov_b64 s[46:47], 31
	s_mov_b32 s15, 0
	s_branch .LBB69_3
.LBB69_1:                               ;   in Loop: Header=BB69_3 Depth=1
	s_mov_b64 s[44:45], 0
.LBB69_2:                               ;   in Loop: Header=BB69_3 Depth=1
	s_and_b64 vcc, exec, s[50:51]
	s_cbranch_vccnz .LBB69_15
.LBB69_3:                               ; =>This Inner Loop Header: Depth=1
	s_mov_b64 s[0:1], s[46:47]
	s_add_u32 s33, s0, -10
	s_lshl_b64 s[2:3], 1, s33
	s_and_b32 s14, s2, 0xffffe
	s_cmp_lg_u64 s[14:15], 0
	s_mov_b64 s[36:37], 0
	s_mov_b64 s[44:45], 0
	;; [unrolled: 1-line block ×10, first 2 shown]
	s_mov_b64 s[20:21], -1
	s_mov_b64 s[50:51], -1
                                        ; implicit-def: $sgpr46_sgpr47
                                        ; implicit-def: $sgpr52
                                        ; implicit-def: $sgpr2_sgpr3
                                        ; implicit-def: $sgpr6_sgpr7
                                        ; implicit-def: $sgpr8_sgpr9
                                        ; implicit-def: $sgpr10_sgpr11
                                        ; implicit-def: $sgpr12_sgpr13
                                        ; implicit-def: $sgpr16_sgpr17
                                        ; implicit-def: $sgpr26_sgpr27
                                        ; implicit-def: $sgpr42_sgpr43
                                        ; implicit-def: $sgpr48_sgpr49
	s_cbranch_scc1 .LBB69_2
; %bb.4:                                ;   in Loop: Header=BB69_3 Depth=1
	s_add_u32 s2, s0, -9
	s_lshl_b64 s[6:7], 1, s2
	s_and_b32 s14, s6, 0xffffe
	s_mov_b64 s[18:19], -1
	s_mov_b64 s[20:21], 0
	s_cmp_eq_u64 s[14:15], 0
                                        ; implicit-def: $sgpr46_sgpr47
                                        ; implicit-def: $sgpr52
                                        ; implicit-def: $sgpr6_sgpr7
                                        ; implicit-def: $sgpr8_sgpr9
                                        ; implicit-def: $sgpr10_sgpr11
                                        ; implicit-def: $sgpr12_sgpr13
                                        ; implicit-def: $sgpr16_sgpr17
                                        ; implicit-def: $sgpr26_sgpr27
                                        ; implicit-def: $sgpr42_sgpr43
                                        ; implicit-def: $sgpr48_sgpr49
	s_cbranch_scc0 .LBB69_2
; %bb.5:                                ;   in Loop: Header=BB69_3 Depth=1
	s_add_u32 s6, s0, -8
	s_lshl_b64 s[8:9], 1, s6
	s_and_b32 s14, s8, 0xffffe
	s_mov_b64 s[22:23], -1
	s_mov_b64 s[18:19], 0
	s_cmp_eq_u64 s[14:15], 0
                                        ; implicit-def: $sgpr46_sgpr47
                                        ; implicit-def: $sgpr52
                                        ; implicit-def: $sgpr8_sgpr9
                                        ; implicit-def: $sgpr10_sgpr11
                                        ; implicit-def: $sgpr12_sgpr13
                                        ; implicit-def: $sgpr16_sgpr17
                                        ; implicit-def: $sgpr26_sgpr27
                                        ; implicit-def: $sgpr42_sgpr43
                                        ; implicit-def: $sgpr48_sgpr49
	s_cbranch_scc0 .LBB69_2
; %bb.6:                                ;   in Loop: Header=BB69_3 Depth=1
	s_add_u32 s8, s0, -7
	s_lshl_b64 s[10:11], 1, s8
	s_and_b32 s14, s10, 0xffffe
	s_mov_b64 s[24:25], -1
	s_mov_b64 s[22:23], 0
	s_cmp_eq_u64 s[14:15], 0
                                        ; implicit-def: $sgpr46_sgpr47
                                        ; implicit-def: $sgpr52
                                        ; implicit-def: $sgpr10_sgpr11
                                        ; implicit-def: $sgpr12_sgpr13
                                        ; implicit-def: $sgpr16_sgpr17
                                        ; implicit-def: $sgpr26_sgpr27
                                        ; implicit-def: $sgpr42_sgpr43
                                        ; implicit-def: $sgpr48_sgpr49
	s_cbranch_scc0 .LBB69_2
; %bb.7:                                ;   in Loop: Header=BB69_3 Depth=1
	s_add_u32 s10, s0, -6
	s_lshl_b64 s[12:13], 1, s10
	s_and_b32 s14, s12, 0xffffe
	s_mov_b64 s[28:29], -1
	s_mov_b64 s[24:25], 0
	s_cmp_eq_u64 s[14:15], 0
                                        ; implicit-def: $sgpr46_sgpr47
                                        ; implicit-def: $sgpr52
                                        ; implicit-def: $sgpr12_sgpr13
                                        ; implicit-def: $sgpr16_sgpr17
                                        ; implicit-def: $sgpr26_sgpr27
                                        ; implicit-def: $sgpr42_sgpr43
                                        ; implicit-def: $sgpr48_sgpr49
	s_cbranch_scc0 .LBB69_2
; %bb.8:                                ;   in Loop: Header=BB69_3 Depth=1
	s_add_u32 s12, s0, -5
	s_lshl_b64 s[16:17], 1, s12
	s_and_b32 s14, s16, 0xffffe
	s_mov_b64 s[30:31], -1
	s_mov_b64 s[28:29], 0
	s_cmp_eq_u64 s[14:15], 0
                                        ; implicit-def: $sgpr46_sgpr47
                                        ; implicit-def: $sgpr52
                                        ; implicit-def: $sgpr16_sgpr17
                                        ; implicit-def: $sgpr26_sgpr27
                                        ; implicit-def: $sgpr42_sgpr43
                                        ; implicit-def: $sgpr48_sgpr49
	s_cbranch_scc0 .LBB69_2
; %bb.9:                                ;   in Loop: Header=BB69_3 Depth=1
	s_add_u32 s16, s0, -4
	s_lshl_b64 s[26:27], 1, s16
	s_and_b32 s14, s26, 0xffffe
	s_mov_b64 s[34:35], -1
	s_mov_b64 s[30:31], 0
	s_cmp_eq_u64 s[14:15], 0
                                        ; implicit-def: $sgpr46_sgpr47
                                        ; implicit-def: $sgpr52
                                        ; implicit-def: $sgpr26_sgpr27
                                        ; implicit-def: $sgpr42_sgpr43
                                        ; implicit-def: $sgpr48_sgpr49
	s_cbranch_scc0 .LBB69_2
; %bb.10:                               ;   in Loop: Header=BB69_3 Depth=1
	s_add_u32 s26, s0, -3
	s_lshl_b64 s[34:35], 1, s26
	s_and_b32 s14, s34, 0xffffe
	s_mov_b64 s[38:39], -1
	s_mov_b64 s[34:35], 0
	s_cmp_eq_u64 s[14:15], 0
                                        ; implicit-def: $sgpr46_sgpr47
                                        ; implicit-def: $sgpr52
                                        ; implicit-def: $sgpr42_sgpr43
                                        ; implicit-def: $sgpr48_sgpr49
	s_cbranch_scc0 .LBB69_2
; %bb.11:                               ;   in Loop: Header=BB69_3 Depth=1
	s_add_u32 s42, s0, -2
	s_lshl_b64 s[36:37], 1, s42
	s_and_b32 s14, s36, 0xffffe
	s_mov_b64 s[40:41], -1
	s_mov_b64 s[38:39], 0
	s_cmp_eq_u64 s[14:15], 0
	s_mov_b64 s[36:37], 0
                                        ; implicit-def: $sgpr46_sgpr47
                                        ; implicit-def: $sgpr52
                                        ; implicit-def: $sgpr48_sgpr49
	s_cbranch_scc0 .LBB69_2
; %bb.12:                               ;   in Loop: Header=BB69_3 Depth=1
	s_add_u32 s48, s0, -1
	s_lshl_b64 s[36:37], 1, s48
	s_and_b32 s14, s36, 0xffffe
	s_mov_b64 s[44:45], -1
	s_mov_b64 s[40:41], 0
	s_cmp_eq_u64 s[14:15], 0
	s_mov_b64 s[36:37], 0
                                        ; implicit-def: $sgpr46_sgpr47
                                        ; implicit-def: $sgpr52
	s_cbranch_scc0 .LBB69_2
; %bb.13:                               ;   in Loop: Header=BB69_3 Depth=1
	s_mov_b64 s[36:37], -1
	s_cmp_lg_u32 s0, 64
                                        ; implicit-def: $sgpr46_sgpr47
                                        ; implicit-def: $sgpr52
	s_cbranch_scc0 .LBB69_1
; %bb.14:                               ;   in Loop: Header=BB69_3 Depth=1
	s_lshl_b64 s[36:37], 1, s0
	s_add_i32 s52, s53, 10
	s_and_b32 s14, s36, 0xffffe
	s_cmp_lg_u64 s[14:15], 0
	s_cselect_b64 s[50:51], -1, 0
	s_add_u32 s46, s0, 11
	s_addc_u32 s47, s1, 0
	s_add_i32 s53, s53, 11
	s_mov_b64 s[36:37], 0
	s_branch .LBB69_1
.LBB69_15:
	s_mov_b64 s[14:15], -1
	s_and_b64 vcc, exec, s[20:21]
	s_cbranch_vccnz .LBB69_61
; %bb.16:
	s_xor_b64 s[14:15], s[18:19], -1
	s_andn2_b64 vcc, exec, s[14:15]
	s_cbranch_vccnz .LBB69_28
; %bb.17:
	s_xor_b64 s[14:15], s[22:23], -1
	s_andn2_b64 vcc, exec, s[14:15]
	;; [unrolled: 4-line block ×9, first 2 shown]
	s_cbranch_vccnz .LBB69_36
; %bb.25:
	s_and_b64 vcc, exec, s[36:37]
	s_cbranch_vccz .LBB69_27
; %bb.26:
	s_mov_b32 s52, s48
.LBB69_27:
	s_mov_b64 s[14:15], 0
	s_branch .LBB69_37
.LBB69_28:
                                        ; implicit-def: $sgpr52
	s_branch .LBB69_59
.LBB69_29:
                                        ; implicit-def: $sgpr52
	s_branch .LBB69_57
.LBB69_30:
                                        ; implicit-def: $sgpr52
	s_branch .LBB69_55
.LBB69_31:
	s_mov_b64 s[10:11], -1
                                        ; implicit-def: $sgpr52
	s_branch .LBB69_52
.LBB69_32:
	s_mov_b64 s[12:13], -1
                                        ; implicit-def: $sgpr52
	s_branch .LBB69_49
.LBB69_33:
	s_mov_b64 s[14:15], -1
                                        ; implicit-def: $sgpr52
	s_branch .LBB69_46
.LBB69_34:
	s_mov_b64 s[14:15], -1
                                        ; implicit-def: $sgpr52
	s_branch .LBB69_43
.LBB69_35:
	s_mov_b64 s[14:15], -1
                                        ; implicit-def: $sgpr52
	s_branch .LBB69_40
.LBB69_36:
	s_mov_b64 s[14:15], -1
                                        ; implicit-def: $sgpr52
.LBB69_37:
	s_andn2_b64 vcc, exec, s[14:15]
	s_cbranch_vccnz .LBB69_39
; %bb.38:
	s_mov_b32 s52, s42
.LBB69_39:
	s_mov_b64 s[14:15], 0
.LBB69_40:
	s_andn2_b64 vcc, exec, s[14:15]
	s_cbranch_vccnz .LBB69_42
; %bb.41:
	s_mov_b32 s52, s26
.LBB69_42:
	s_mov_b64 s[14:15], 0
.LBB69_43:
	s_andn2_b64 vcc, exec, s[14:15]
	s_cbranch_vccnz .LBB69_45
; %bb.44:
	s_mov_b32 s52, s16
.LBB69_45:
	s_mov_b64 s[14:15], 0
.LBB69_46:
	s_andn2_b64 vcc, exec, s[14:15]
	s_cbranch_vccnz .LBB69_48
; %bb.47:
	s_mov_b32 s52, s12
.LBB69_48:
	s_mov_b64 s[12:13], 0
.LBB69_49:
	s_andn2_b64 vcc, exec, s[12:13]
	s_cbranch_vccnz .LBB69_51
; %bb.50:
	s_mov_b32 s52, s10
.LBB69_51:
	s_mov_b64 s[10:11], 0
.LBB69_52:
	s_andn2_b64 vcc, exec, s[10:11]
	s_cbranch_vccnz .LBB69_54
; %bb.53:
	s_mov_b32 s52, s8
.LBB69_54:
	s_cbranch_execnz .LBB69_56
.LBB69_55:
	s_mov_b32 s52, s6
.LBB69_56:
	s_cbranch_execnz .LBB69_58
.LBB69_57:
	s_mov_b32 s52, s2
.LBB69_58:
	s_cbranch_execnz .LBB69_60
.LBB69_59:
	s_mov_b32 s52, s33
.LBB69_60:
	s_mov_b64 s[14:15], 0
.LBB69_61:
	s_andn2_b64 vcc, exec, s[14:15]
	s_cbranch_vccnz .LBB69_63
; %bb.62:
	s_add_i32 s52, s0, -11
.LBB69_63:
	s_load_dwordx2 s[0:1], s[4:5], 0x0
	s_cmp_gt_u32 s52, 62
	s_cselect_b64 s[2:3], -1, 0
	v_cndmask_b32_e64 v1, 0, 1, s[2:3]
	s_waitcnt lgkmcnt(0)
	global_store_byte v0, v1, s[0:1]
	s_endpgm
	.section	.rodata,"a",@progbits
	.p2align	6, 0x0
	.amdhsa_kernel _Z21device_test_warp_maskILj20EEvP10TestStatus
		.amdhsa_group_segment_fixed_size 0
		.amdhsa_private_segment_fixed_size 0
		.amdhsa_kernarg_size 8
		.amdhsa_user_sgpr_count 6
		.amdhsa_user_sgpr_private_segment_buffer 1
		.amdhsa_user_sgpr_dispatch_ptr 0
		.amdhsa_user_sgpr_queue_ptr 0
		.amdhsa_user_sgpr_kernarg_segment_ptr 1
		.amdhsa_user_sgpr_dispatch_id 0
		.amdhsa_user_sgpr_flat_scratch_init 0
		.amdhsa_user_sgpr_kernarg_preload_length 0
		.amdhsa_user_sgpr_kernarg_preload_offset 0
		.amdhsa_user_sgpr_private_segment_size 0
		.amdhsa_uses_dynamic_stack 0
		.amdhsa_system_sgpr_private_segment_wavefront_offset 0
		.amdhsa_system_sgpr_workgroup_id_x 1
		.amdhsa_system_sgpr_workgroup_id_y 0
		.amdhsa_system_sgpr_workgroup_id_z 0
		.amdhsa_system_sgpr_workgroup_info 0
		.amdhsa_system_vgpr_workitem_id 0
		.amdhsa_next_free_vgpr 2
		.amdhsa_next_free_sgpr 54
		.amdhsa_accum_offset 4
		.amdhsa_reserve_vcc 1
		.amdhsa_reserve_flat_scratch 0
		.amdhsa_float_round_mode_32 0
		.amdhsa_float_round_mode_16_64 0
		.amdhsa_float_denorm_mode_32 3
		.amdhsa_float_denorm_mode_16_64 3
		.amdhsa_dx10_clamp 1
		.amdhsa_ieee_mode 1
		.amdhsa_fp16_overflow 0
		.amdhsa_tg_split 0
		.amdhsa_exception_fp_ieee_invalid_op 0
		.amdhsa_exception_fp_denorm_src 0
		.amdhsa_exception_fp_ieee_div_zero 0
		.amdhsa_exception_fp_ieee_overflow 0
		.amdhsa_exception_fp_ieee_underflow 0
		.amdhsa_exception_fp_ieee_inexact 0
		.amdhsa_exception_int_div_zero 0
	.end_amdhsa_kernel
	.section	.text._Z21device_test_warp_maskILj20EEvP10TestStatus,"axG",@progbits,_Z21device_test_warp_maskILj20EEvP10TestStatus,comdat
.Lfunc_end69:
	.size	_Z21device_test_warp_maskILj20EEvP10TestStatus, .Lfunc_end69-_Z21device_test_warp_maskILj20EEvP10TestStatus
                                        ; -- End function
	.section	.AMDGPU.csdata,"",@progbits
; Kernel info:
; codeLenInByte = 824
; NumSgprs: 58
; NumVgprs: 2
; NumAgprs: 0
; TotalNumVgprs: 2
; ScratchSize: 0
; MemoryBound: 0
; FloatMode: 240
; IeeeMode: 1
; LDSByteSize: 0 bytes/workgroup (compile time only)
; SGPRBlocks: 7
; VGPRBlocks: 0
; NumSGPRsForWavesPerEU: 58
; NumVGPRsForWavesPerEU: 2
; AccumOffset: 4
; Occupancy: 8
; WaveLimiterHint : 0
; COMPUTE_PGM_RSRC2:SCRATCH_EN: 0
; COMPUTE_PGM_RSRC2:USER_SGPR: 6
; COMPUTE_PGM_RSRC2:TRAP_HANDLER: 0
; COMPUTE_PGM_RSRC2:TGID_X_EN: 1
; COMPUTE_PGM_RSRC2:TGID_Y_EN: 0
; COMPUTE_PGM_RSRC2:TGID_Z_EN: 0
; COMPUTE_PGM_RSRC2:TIDIG_COMP_CNT: 0
; COMPUTE_PGM_RSRC3_GFX90A:ACCUM_OFFSET: 0
; COMPUTE_PGM_RSRC3_GFX90A:TG_SPLIT: 0
	.section	.text._Z21device_test_warp_maskILj21EEvP10TestStatus,"axG",@progbits,_Z21device_test_warp_maskILj21EEvP10TestStatus,comdat
	.protected	_Z21device_test_warp_maskILj21EEvP10TestStatus ; -- Begin function _Z21device_test_warp_maskILj21EEvP10TestStatus
	.globl	_Z21device_test_warp_maskILj21EEvP10TestStatus
	.p2align	8
	.type	_Z21device_test_warp_maskILj21EEvP10TestStatus,@function
_Z21device_test_warp_maskILj21EEvP10TestStatus: ; @_Z21device_test_warp_maskILj21EEvP10TestStatus
; %bb.0:
	s_mov_b32 s38, 21
	s_mov_b64 s[20:21], 29
	s_mov_b32 s11, 0
	s_branch .LBB70_3
.LBB70_1:                               ;   in Loop: Header=BB70_3 Depth=1
	s_add_i32 s39, s38, 2
	s_mov_b64 s[18:19], -1
                                        ; implicit-def: $sgpr38
                                        ; implicit-def: $sgpr20_sgpr21
                                        ; implicit-def: $sgpr6_sgpr7
                                        ; implicit-def: $sgpr8_sgpr9
                                        ; implicit-def: $sgpr12_sgpr13
                                        ; implicit-def: $sgpr26_sgpr27
.LBB70_2:                               ;   in Loop: Header=BB70_3 Depth=1
	s_and_b64 vcc, exec, s[36:37]
	s_cbranch_vccnz .LBB70_14
.LBB70_3:                               ; =>This Inner Loop Header: Depth=1
	s_mov_b64 s[0:1], s[20:21]
	s_add_u32 s33, s0, -7
	s_lshl_b64 s[2:3], 1, s33
	s_and_b32 s10, s2, 0x1ffffe
	s_mov_b64 s[14:15], -1
	s_cmp_lg_u64 s[10:11], 0
	s_mov_b64 s[30:31], 0
	s_mov_b64 s[34:35], 0
	;; [unrolled: 1-line block ×7, first 2 shown]
	s_mov_b64 s[36:37], -1
                                        ; implicit-def: $sgpr20_sgpr21
                                        ; implicit-def: $sgpr39
                                        ; implicit-def: $sgpr2_sgpr3
                                        ; implicit-def: $sgpr6_sgpr7
                                        ; implicit-def: $sgpr8_sgpr9
                                        ; implicit-def: $sgpr12_sgpr13
                                        ; implicit-def: $sgpr26_sgpr27
	s_cbranch_scc1 .LBB70_2
; %bb.4:                                ;   in Loop: Header=BB70_3 Depth=1
	s_add_u32 s2, s0, -6
	s_lshl_b64 s[6:7], 1, s2
	s_and_b32 s10, s6, 0x1ffffe
	s_mov_b64 s[16:17], -1
	s_mov_b64 s[14:15], 0
	s_cmp_eq_u64 s[10:11], 0
                                        ; implicit-def: $sgpr20_sgpr21
                                        ; implicit-def: $sgpr39
                                        ; implicit-def: $sgpr6_sgpr7
                                        ; implicit-def: $sgpr8_sgpr9
                                        ; implicit-def: $sgpr12_sgpr13
                                        ; implicit-def: $sgpr26_sgpr27
	s_cbranch_scc0 .LBB70_2
; %bb.5:                                ;   in Loop: Header=BB70_3 Depth=1
	s_cmpk_lg_i32 s0, 0x45
	s_mov_b64 s[16:17], 0
	s_cbranch_scc0 .LBB70_1
; %bb.6:                                ;   in Loop: Header=BB70_3 Depth=1
	s_add_u32 s6, s0, -5
	s_lshl_b64 s[8:9], 1, s6
	s_and_b32 s10, s8, 0x1ffffe
	s_mov_b64 s[22:23], -1
	s_cmp_eq_u64 s[10:11], 0
                                        ; implicit-def: $sgpr20_sgpr21
                                        ; implicit-def: $sgpr8_sgpr9
                                        ; implicit-def: $sgpr12_sgpr13
                                        ; implicit-def: $sgpr26_sgpr27
	s_cbranch_scc0 .LBB70_10
; %bb.7:                                ;   in Loop: Header=BB70_3 Depth=1
	s_add_u32 s8, s0, -4
	s_lshl_b64 s[12:13], 1, s8
	s_and_b32 s10, s12, 0x1ffffe
	s_mov_b64 s[24:25], -1
	s_mov_b64 s[22:23], 0
	s_cmp_eq_u64 s[10:11], 0
                                        ; implicit-def: $sgpr20_sgpr21
                                        ; implicit-def: $sgpr12_sgpr13
                                        ; implicit-def: $sgpr26_sgpr27
	s_cbranch_scc0 .LBB70_10
; %bb.8:                                ;   in Loop: Header=BB70_3 Depth=1
	s_add_u32 s12, s0, -3
	s_lshl_b64 s[20:21], 1, s12
	s_and_b32 s10, s20, 0x1ffffe
	s_mov_b64 s[28:29], -1
	s_mov_b64 s[24:25], 0
	s_cmp_eq_u64 s[10:11], 0
                                        ; implicit-def: $sgpr20_sgpr21
                                        ; implicit-def: $sgpr26_sgpr27
	s_cbranch_scc0 .LBB70_10
; %bb.9:                                ;   in Loop: Header=BB70_3 Depth=1
	s_add_u32 s26, s0, -2
	s_lshl_b64 s[20:21], 1, s26
	s_and_b32 s10, s20, 0x1ffffe
	s_mov_b64 s[34:35], -1
	s_mov_b64 s[28:29], 0
	s_cmp_eq_u64 s[10:11], 0
                                        ; implicit-def: $sgpr20_sgpr21
	s_cbranch_scc1 .LBB70_11
.LBB70_10:                              ;   in Loop: Header=BB70_3 Depth=1
                                        ; implicit-def: $sgpr39
	s_branch .LBB70_2
.LBB70_11:                              ;   in Loop: Header=BB70_3 Depth=1
	s_add_i32 s3, s0, -1
	s_lshl_b64 s[20:21], 1, s3
	s_and_b32 s10, s20, 0x1ffffe
	s_mov_b64 s[30:31], -1
	s_cmp_eq_u64 s[10:11], 0
                                        ; implicit-def: $sgpr20_sgpr21
	s_cbranch_scc0 .LBB70_13
; %bb.12:                               ;   in Loop: Header=BB70_3 Depth=1
	s_lshl_b64 s[20:21], 1, s0
	s_add_i32 s38, s38, 8
	s_and_b32 s10, s20, 0x1ffffe
	s_cmp_lg_u64 s[10:11], 0
	s_cselect_b64 s[36:37], -1, 0
	s_add_u32 s20, s0, 8
	s_addc_u32 s21, s1, 0
	s_mov_b64 s[30:31], 0
.LBB70_13:                              ;   in Loop: Header=BB70_3 Depth=1
	s_mov_b64 s[34:35], 0
                                        ; implicit-def: $sgpr39
	s_branch .LBB70_2
.LBB70_14:
	s_mov_b64 s[10:11], -1
	s_and_b64 vcc, exec, s[14:15]
	s_cbranch_vccnz .LBB70_45
; %bb.15:
	s_xor_b64 s[10:11], s[16:17], -1
	s_andn2_b64 vcc, exec, s[10:11]
	s_cbranch_vccnz .LBB70_23
; %bb.16:
	s_xor_b64 s[10:11], s[18:19], -1
	s_andn2_b64 vcc, exec, s[10:11]
	;; [unrolled: 4-line block ×6, first 2 shown]
	s_cbranch_vccnz .LBB70_27
; %bb.21:
	s_xor_b64 s[10:11], s[30:31], -1
	s_and_b64 vcc, exec, s[10:11]
	s_cbranch_vccz .LBB70_28
; %bb.22:
	s_add_i32 s39, s20, -9
	s_mov_b64 s[10:11], 0
	s_branch .LBB70_29
.LBB70_23:
                                        ; implicit-def: $sgpr39
	s_branch .LBB70_43
.LBB70_24:
                                        ; implicit-def: $sgpr39
	s_branch .LBB70_41
.LBB70_25:
	s_mov_b64 s[8:9], -1
                                        ; implicit-def: $sgpr39
	s_branch .LBB70_38
.LBB70_26:
	s_mov_b64 s[10:11], -1
                                        ; implicit-def: $sgpr39
	s_branch .LBB70_35
.LBB70_27:
	s_mov_b64 s[10:11], -1
                                        ; implicit-def: $sgpr39
	s_branch .LBB70_32
.LBB70_28:
	s_mov_b64 s[10:11], -1
                                        ; implicit-def: $sgpr39
.LBB70_29:
	s_andn2_b64 vcc, exec, s[10:11]
	s_cbranch_vccnz .LBB70_31
; %bb.30:
	s_mov_b32 s39, s26
.LBB70_31:
	s_mov_b64 s[10:11], 0
.LBB70_32:
	s_andn2_b64 vcc, exec, s[10:11]
	s_cbranch_vccnz .LBB70_34
; %bb.33:
	s_mov_b32 s39, s12
.LBB70_34:
	s_mov_b64 s[10:11], 0
.LBB70_35:
	s_andn2_b64 vcc, exec, s[10:11]
	s_cbranch_vccnz .LBB70_37
; %bb.36:
	s_mov_b32 s39, s8
.LBB70_37:
	s_mov_b64 s[8:9], 0
.LBB70_38:
	s_andn2_b64 vcc, exec, s[8:9]
	s_cbranch_vccnz .LBB70_40
; %bb.39:
	s_mov_b32 s39, s6
.LBB70_40:
	s_cbranch_execnz .LBB70_42
.LBB70_41:
	s_mov_b32 s39, s2
.LBB70_42:
	s_cbranch_execnz .LBB70_44
.LBB70_43:
	s_mov_b32 s39, s33
.LBB70_44:
	s_mov_b64 s[10:11], 0
.LBB70_45:
	s_andn2_b64 vcc, exec, s[10:11]
	s_cbranch_vccnz .LBB70_47
; %bb.46:
	s_add_i32 s39, s0, -8
.LBB70_47:
	s_load_dwordx2 s[0:1], s[4:5], 0x0
	s_cmp_gt_u32 s39, 62
	s_cselect_b64 s[2:3], -1, 0
	v_cndmask_b32_e64 v1, 0, 1, s[2:3]
	s_waitcnt lgkmcnt(0)
	global_store_byte v0, v1, s[0:1]
	s_endpgm
	.section	.rodata,"a",@progbits
	.p2align	6, 0x0
	.amdhsa_kernel _Z21device_test_warp_maskILj21EEvP10TestStatus
		.amdhsa_group_segment_fixed_size 0
		.amdhsa_private_segment_fixed_size 0
		.amdhsa_kernarg_size 8
		.amdhsa_user_sgpr_count 6
		.amdhsa_user_sgpr_private_segment_buffer 1
		.amdhsa_user_sgpr_dispatch_ptr 0
		.amdhsa_user_sgpr_queue_ptr 0
		.amdhsa_user_sgpr_kernarg_segment_ptr 1
		.amdhsa_user_sgpr_dispatch_id 0
		.amdhsa_user_sgpr_flat_scratch_init 0
		.amdhsa_user_sgpr_kernarg_preload_length 0
		.amdhsa_user_sgpr_kernarg_preload_offset 0
		.amdhsa_user_sgpr_private_segment_size 0
		.amdhsa_uses_dynamic_stack 0
		.amdhsa_system_sgpr_private_segment_wavefront_offset 0
		.amdhsa_system_sgpr_workgroup_id_x 1
		.amdhsa_system_sgpr_workgroup_id_y 0
		.amdhsa_system_sgpr_workgroup_id_z 0
		.amdhsa_system_sgpr_workgroup_info 0
		.amdhsa_system_vgpr_workitem_id 0
		.amdhsa_next_free_vgpr 2
		.amdhsa_next_free_sgpr 40
		.amdhsa_accum_offset 4
		.amdhsa_reserve_vcc 1
		.amdhsa_reserve_flat_scratch 0
		.amdhsa_float_round_mode_32 0
		.amdhsa_float_round_mode_16_64 0
		.amdhsa_float_denorm_mode_32 3
		.amdhsa_float_denorm_mode_16_64 3
		.amdhsa_dx10_clamp 1
		.amdhsa_ieee_mode 1
		.amdhsa_fp16_overflow 0
		.amdhsa_tg_split 0
		.amdhsa_exception_fp_ieee_invalid_op 0
		.amdhsa_exception_fp_denorm_src 0
		.amdhsa_exception_fp_ieee_div_zero 0
		.amdhsa_exception_fp_ieee_overflow 0
		.amdhsa_exception_fp_ieee_underflow 0
		.amdhsa_exception_fp_ieee_inexact 0
		.amdhsa_exception_int_div_zero 0
	.end_amdhsa_kernel
	.section	.text._Z21device_test_warp_maskILj21EEvP10TestStatus,"axG",@progbits,_Z21device_test_warp_maskILj21EEvP10TestStatus,comdat
.Lfunc_end70:
	.size	_Z21device_test_warp_maskILj21EEvP10TestStatus, .Lfunc_end70-_Z21device_test_warp_maskILj21EEvP10TestStatus
                                        ; -- End function
	.section	.AMDGPU.csdata,"",@progbits
; Kernel info:
; codeLenInByte = 616
; NumSgprs: 44
; NumVgprs: 2
; NumAgprs: 0
; TotalNumVgprs: 2
; ScratchSize: 0
; MemoryBound: 0
; FloatMode: 240
; IeeeMode: 1
; LDSByteSize: 0 bytes/workgroup (compile time only)
; SGPRBlocks: 5
; VGPRBlocks: 0
; NumSGPRsForWavesPerEU: 44
; NumVGPRsForWavesPerEU: 2
; AccumOffset: 4
; Occupancy: 8
; WaveLimiterHint : 0
; COMPUTE_PGM_RSRC2:SCRATCH_EN: 0
; COMPUTE_PGM_RSRC2:USER_SGPR: 6
; COMPUTE_PGM_RSRC2:TRAP_HANDLER: 0
; COMPUTE_PGM_RSRC2:TGID_X_EN: 1
; COMPUTE_PGM_RSRC2:TGID_Y_EN: 0
; COMPUTE_PGM_RSRC2:TGID_Z_EN: 0
; COMPUTE_PGM_RSRC2:TIDIG_COMP_CNT: 0
; COMPUTE_PGM_RSRC3_GFX90A:ACCUM_OFFSET: 0
; COMPUTE_PGM_RSRC3_GFX90A:TG_SPLIT: 0
	.section	.text._Z21device_test_warp_maskILj22EEvP10TestStatus,"axG",@progbits,_Z21device_test_warp_maskILj22EEvP10TestStatus,comdat
	.protected	_Z21device_test_warp_maskILj22EEvP10TestStatus ; -- Begin function _Z21device_test_warp_maskILj22EEvP10TestStatus
	.globl	_Z21device_test_warp_maskILj22EEvP10TestStatus
	.p2align	8
	.type	_Z21device_test_warp_maskILj22EEvP10TestStatus,@function
_Z21device_test_warp_maskILj22EEvP10TestStatus: ; @_Z21device_test_warp_maskILj22EEvP10TestStatus
; %bb.0:
	s_mov_b32 s37, 22
	s_mov_b64 s[28:29], 29
	s_mov_b32 s11, 0
	s_branch .LBB71_3
.LBB71_1:                               ;   in Loop: Header=BB71_3 Depth=1
	s_mov_b64 s[30:31], 0
.LBB71_2:                               ;   in Loop: Header=BB71_3 Depth=1
	s_and_b64 vcc, exec, s[34:35]
	s_cbranch_vccnz .LBB71_11
.LBB71_3:                               ; =>This Inner Loop Header: Depth=1
	s_mov_b64 s[0:1], s[28:29]
	s_add_u32 s33, s0, -6
	s_lshl_b64 s[2:3], 1, s33
	s_and_b32 s10, s2, 0x3ffffe
	s_cmp_lg_u64 s[10:11], 0
	s_mov_b64 s[24:25], 0
	s_mov_b64 s[30:31], 0
	;; [unrolled: 1-line block ×6, first 2 shown]
	s_mov_b64 s[16:17], -1
	s_mov_b64 s[34:35], -1
                                        ; implicit-def: $sgpr28_sgpr29
                                        ; implicit-def: $sgpr36
                                        ; implicit-def: $sgpr2_sgpr3
                                        ; implicit-def: $sgpr6_sgpr7
                                        ; implicit-def: $sgpr8_sgpr9
                                        ; implicit-def: $sgpr12_sgpr13
                                        ; implicit-def: $sgpr26_sgpr27
	s_cbranch_scc1 .LBB71_2
; %bb.4:                                ;   in Loop: Header=BB71_3 Depth=1
	s_add_u32 s2, s0, -5
	s_lshl_b64 s[6:7], 1, s2
	s_and_b32 s10, s6, 0x3ffffe
	s_mov_b64 s[14:15], -1
	s_mov_b64 s[16:17], 0
	s_cmp_eq_u64 s[10:11], 0
                                        ; implicit-def: $sgpr28_sgpr29
                                        ; implicit-def: $sgpr36
                                        ; implicit-def: $sgpr6_sgpr7
                                        ; implicit-def: $sgpr8_sgpr9
                                        ; implicit-def: $sgpr12_sgpr13
                                        ; implicit-def: $sgpr26_sgpr27
	s_cbranch_scc0 .LBB71_2
; %bb.5:                                ;   in Loop: Header=BB71_3 Depth=1
	s_add_u32 s6, s0, -4
	s_lshl_b64 s[8:9], 1, s6
	s_and_b32 s10, s8, 0x3ffffe
	s_mov_b64 s[18:19], -1
	s_mov_b64 s[14:15], 0
	s_cmp_eq_u64 s[10:11], 0
                                        ; implicit-def: $sgpr28_sgpr29
                                        ; implicit-def: $sgpr36
                                        ; implicit-def: $sgpr8_sgpr9
                                        ; implicit-def: $sgpr12_sgpr13
                                        ; implicit-def: $sgpr26_sgpr27
	s_cbranch_scc0 .LBB71_2
; %bb.6:                                ;   in Loop: Header=BB71_3 Depth=1
	s_add_u32 s8, s0, -3
	s_lshl_b64 s[12:13], 1, s8
	s_and_b32 s10, s12, 0x3ffffe
	s_mov_b64 s[20:21], -1
	s_mov_b64 s[18:19], 0
	s_cmp_eq_u64 s[10:11], 0
                                        ; implicit-def: $sgpr28_sgpr29
                                        ; implicit-def: $sgpr36
                                        ; implicit-def: $sgpr12_sgpr13
                                        ; implicit-def: $sgpr26_sgpr27
	s_cbranch_scc0 .LBB71_2
; %bb.7:                                ;   in Loop: Header=BB71_3 Depth=1
	s_add_u32 s12, s0, -2
	s_lshl_b64 s[20:21], 1, s12
	s_and_b32 s10, s20, 0x3ffffe
	s_mov_b64 s[22:23], -1
	s_mov_b64 s[20:21], 0
	s_cmp_eq_u64 s[10:11], 0
                                        ; implicit-def: $sgpr28_sgpr29
                                        ; implicit-def: $sgpr36
                                        ; implicit-def: $sgpr26_sgpr27
	s_cbranch_scc0 .LBB71_2
; %bb.8:                                ;   in Loop: Header=BB71_3 Depth=1
	s_add_u32 s26, s0, -1
	s_lshl_b64 s[22:23], 1, s26
	s_and_b32 s10, s22, 0x3ffffe
	s_mov_b64 s[30:31], -1
	s_mov_b64 s[22:23], 0
	s_cmp_eq_u64 s[10:11], 0
                                        ; implicit-def: $sgpr28_sgpr29
                                        ; implicit-def: $sgpr36
	s_cbranch_scc0 .LBB71_2
; %bb.9:                                ;   in Loop: Header=BB71_3 Depth=1
	s_mov_b64 s[24:25], -1
	s_cmp_lg_u32 s0, 64
                                        ; implicit-def: $sgpr28_sgpr29
                                        ; implicit-def: $sgpr36
	s_cbranch_scc0 .LBB71_1
; %bb.10:                               ;   in Loop: Header=BB71_3 Depth=1
	s_lshl_b64 s[24:25], 1, s0
	s_add_i32 s36, s37, 6
	s_and_b32 s10, s24, 0x3ffffe
	s_cmp_lg_u64 s[10:11], 0
	s_cselect_b64 s[34:35], -1, 0
	s_add_u32 s28, s0, 7
	s_addc_u32 s29, s1, 0
	s_add_i32 s37, s37, 7
	s_mov_b64 s[24:25], 0
	s_branch .LBB71_1
.LBB71_11:
	s_mov_b64 s[10:11], -1
	s_and_b64 vcc, exec, s[16:17]
	s_cbranch_vccnz .LBB71_37
; %bb.12:
	s_xor_b64 s[10:11], s[14:15], -1
	s_andn2_b64 vcc, exec, s[10:11]
	s_cbranch_vccnz .LBB71_20
; %bb.13:
	s_xor_b64 s[10:11], s[18:19], -1
	s_andn2_b64 vcc, exec, s[10:11]
	;; [unrolled: 4-line block ×5, first 2 shown]
	s_cbranch_vccnz .LBB71_24
; %bb.17:
	s_and_b64 vcc, exec, s[24:25]
	s_cbranch_vccz .LBB71_19
; %bb.18:
	s_mov_b32 s36, s26
.LBB71_19:
	s_mov_b64 s[10:11], 0
	s_branch .LBB71_25
.LBB71_20:
                                        ; implicit-def: $sgpr36
	s_branch .LBB71_35
.LBB71_21:
                                        ; implicit-def: $sgpr36
	s_branch .LBB71_33
.LBB71_22:
                                        ; implicit-def: $sgpr36
	s_branch .LBB71_31
.LBB71_23:
	s_mov_b64 s[10:11], -1
                                        ; implicit-def: $sgpr36
	s_branch .LBB71_28
.LBB71_24:
	s_mov_b64 s[10:11], -1
                                        ; implicit-def: $sgpr36
.LBB71_25:
	s_andn2_b64 vcc, exec, s[10:11]
	s_cbranch_vccnz .LBB71_27
; %bb.26:
	s_mov_b32 s36, s12
.LBB71_27:
	s_mov_b64 s[10:11], 0
.LBB71_28:
	s_andn2_b64 vcc, exec, s[10:11]
	s_cbranch_vccnz .LBB71_30
; %bb.29:
	s_mov_b32 s36, s8
.LBB71_30:
	s_cbranch_execnz .LBB71_32
.LBB71_31:
	s_mov_b32 s36, s6
.LBB71_32:
	s_cbranch_execnz .LBB71_34
.LBB71_33:
	s_mov_b32 s36, s2
.LBB71_34:
	s_cbranch_execnz .LBB71_36
.LBB71_35:
	s_mov_b32 s36, s33
.LBB71_36:
	s_mov_b64 s[10:11], 0
.LBB71_37:
	s_andn2_b64 vcc, exec, s[10:11]
	s_cbranch_vccnz .LBB71_39
; %bb.38:
	s_add_i32 s36, s0, -7
.LBB71_39:
	s_load_dwordx2 s[0:1], s[4:5], 0x0
	s_cmp_gt_u32 s36, 62
	s_cselect_b64 s[2:3], -1, 0
	v_cndmask_b32_e64 v1, 0, 1, s[2:3]
	s_waitcnt lgkmcnt(0)
	global_store_byte v0, v1, s[0:1]
	s_endpgm
	.section	.rodata,"a",@progbits
	.p2align	6, 0x0
	.amdhsa_kernel _Z21device_test_warp_maskILj22EEvP10TestStatus
		.amdhsa_group_segment_fixed_size 0
		.amdhsa_private_segment_fixed_size 0
		.amdhsa_kernarg_size 8
		.amdhsa_user_sgpr_count 6
		.amdhsa_user_sgpr_private_segment_buffer 1
		.amdhsa_user_sgpr_dispatch_ptr 0
		.amdhsa_user_sgpr_queue_ptr 0
		.amdhsa_user_sgpr_kernarg_segment_ptr 1
		.amdhsa_user_sgpr_dispatch_id 0
		.amdhsa_user_sgpr_flat_scratch_init 0
		.amdhsa_user_sgpr_kernarg_preload_length 0
		.amdhsa_user_sgpr_kernarg_preload_offset 0
		.amdhsa_user_sgpr_private_segment_size 0
		.amdhsa_uses_dynamic_stack 0
		.amdhsa_system_sgpr_private_segment_wavefront_offset 0
		.amdhsa_system_sgpr_workgroup_id_x 1
		.amdhsa_system_sgpr_workgroup_id_y 0
		.amdhsa_system_sgpr_workgroup_id_z 0
		.amdhsa_system_sgpr_workgroup_info 0
		.amdhsa_system_vgpr_workitem_id 0
		.amdhsa_next_free_vgpr 2
		.amdhsa_next_free_sgpr 38
		.amdhsa_accum_offset 4
		.amdhsa_reserve_vcc 1
		.amdhsa_reserve_flat_scratch 0
		.amdhsa_float_round_mode_32 0
		.amdhsa_float_round_mode_16_64 0
		.amdhsa_float_denorm_mode_32 3
		.amdhsa_float_denorm_mode_16_64 3
		.amdhsa_dx10_clamp 1
		.amdhsa_ieee_mode 1
		.amdhsa_fp16_overflow 0
		.amdhsa_tg_split 0
		.amdhsa_exception_fp_ieee_invalid_op 0
		.amdhsa_exception_fp_denorm_src 0
		.amdhsa_exception_fp_ieee_div_zero 0
		.amdhsa_exception_fp_ieee_overflow 0
		.amdhsa_exception_fp_ieee_underflow 0
		.amdhsa_exception_fp_ieee_inexact 0
		.amdhsa_exception_int_div_zero 0
	.end_amdhsa_kernel
	.section	.text._Z21device_test_warp_maskILj22EEvP10TestStatus,"axG",@progbits,_Z21device_test_warp_maskILj22EEvP10TestStatus,comdat
.Lfunc_end71:
	.size	_Z21device_test_warp_maskILj22EEvP10TestStatus, .Lfunc_end71-_Z21device_test_warp_maskILj22EEvP10TestStatus
                                        ; -- End function
	.section	.AMDGPU.csdata,"",@progbits
; Kernel info:
; codeLenInByte = 528
; NumSgprs: 42
; NumVgprs: 2
; NumAgprs: 0
; TotalNumVgprs: 2
; ScratchSize: 0
; MemoryBound: 0
; FloatMode: 240
; IeeeMode: 1
; LDSByteSize: 0 bytes/workgroup (compile time only)
; SGPRBlocks: 5
; VGPRBlocks: 0
; NumSGPRsForWavesPerEU: 42
; NumVGPRsForWavesPerEU: 2
; AccumOffset: 4
; Occupancy: 8
; WaveLimiterHint : 0
; COMPUTE_PGM_RSRC2:SCRATCH_EN: 0
; COMPUTE_PGM_RSRC2:USER_SGPR: 6
; COMPUTE_PGM_RSRC2:TRAP_HANDLER: 0
; COMPUTE_PGM_RSRC2:TGID_X_EN: 1
; COMPUTE_PGM_RSRC2:TGID_Y_EN: 0
; COMPUTE_PGM_RSRC2:TGID_Z_EN: 0
; COMPUTE_PGM_RSRC2:TIDIG_COMP_CNT: 0
; COMPUTE_PGM_RSRC3_GFX90A:ACCUM_OFFSET: 0
; COMPUTE_PGM_RSRC3_GFX90A:TG_SPLIT: 0
	.section	.text._Z21device_test_warp_maskILj23EEvP10TestStatus,"axG",@progbits,_Z21device_test_warp_maskILj23EEvP10TestStatus,comdat
	.protected	_Z21device_test_warp_maskILj23EEvP10TestStatus ; -- Begin function _Z21device_test_warp_maskILj23EEvP10TestStatus
	.globl	_Z21device_test_warp_maskILj23EEvP10TestStatus
	.p2align	8
	.type	_Z21device_test_warp_maskILj23EEvP10TestStatus,@function
_Z21device_test_warp_maskILj23EEvP10TestStatus: ; @_Z21device_test_warp_maskILj23EEvP10TestStatus
; %bb.0:
	s_mov_b32 s33, 23
	s_mov_b64 s[22:23], 31
	s_mov_b32 s13, 0
	s_branch .LBB72_3
.LBB72_1:                               ;   in Loop: Header=BB72_3 Depth=1
                                        ; implicit-def: $sgpr22_sgpr23
                                        ; implicit-def: $sgpr6_sgpr7
                                        ; implicit-def: $sgpr8_sgpr9
                                        ; implicit-def: $sgpr10_sgpr11
                                        ; implicit-def: $sgpr14_sgpr15
                                        ; implicit-def: $sgpr30_sgpr31
.LBB72_2:                               ;   in Loop: Header=BB72_3 Depth=1
	s_and_b64 vcc, exec, s[38:39]
	s_cbranch_vccnz .LBB72_13
.LBB72_3:                               ; =>This Inner Loop Header: Depth=1
	s_mov_b64 s[0:1], s[22:23]
	s_mov_b64 s[16:17], -1
	s_cmpk_eq_i32 s0, 0x47
	s_mov_b64 s[34:35], 0
	s_mov_b64 s[36:37], 0
	;; [unrolled: 1-line block ×7, first 2 shown]
	s_mov_b64 s[38:39], -1
                                        ; implicit-def: $sgpr22_sgpr23
                                        ; implicit-def: $sgpr2_sgpr3
                                        ; implicit-def: $sgpr6_sgpr7
                                        ; implicit-def: $sgpr8_sgpr9
                                        ; implicit-def: $sgpr10_sgpr11
                                        ; implicit-def: $sgpr14_sgpr15
                                        ; implicit-def: $sgpr30_sgpr31
	s_cbranch_scc1 .LBB72_2
; %bb.4:                                ;   in Loop: Header=BB72_3 Depth=1
	s_add_u32 s2, s0, -7
	s_lshl_b64 s[6:7], 1, s2
	s_and_b32 s12, s6, 0x7ffffe
	s_mov_b64 s[18:19], -1
	s_cmp_eq_u64 s[12:13], 0
	s_mov_b64 s[16:17], 0
	s_cbranch_scc0 .LBB72_1
; %bb.5:                                ;   in Loop: Header=BB72_3 Depth=1
	s_add_u32 s6, s0, -6
	s_lshl_b64 s[8:9], 1, s6
	s_and_b32 s12, s8, 0x7ffffe
	s_mov_b64 s[20:21], -1
	s_mov_b64 s[18:19], 0
	s_cmp_eq_u64 s[12:13], 0
                                        ; implicit-def: $sgpr22_sgpr23
                                        ; implicit-def: $sgpr8_sgpr9
                                        ; implicit-def: $sgpr10_sgpr11
                                        ; implicit-def: $sgpr14_sgpr15
                                        ; implicit-def: $sgpr30_sgpr31
	s_cbranch_scc0 .LBB72_2
; %bb.6:                                ;   in Loop: Header=BB72_3 Depth=1
	s_add_u32 s8, s0, -5
	s_lshl_b64 s[10:11], 1, s8
	s_and_b32 s12, s10, 0x7ffffe
	s_mov_b64 s[24:25], -1
	s_mov_b64 s[20:21], 0
	s_cmp_eq_u64 s[12:13], 0
                                        ; implicit-def: $sgpr22_sgpr23
                                        ; implicit-def: $sgpr10_sgpr11
                                        ; implicit-def: $sgpr14_sgpr15
                                        ; implicit-def: $sgpr30_sgpr31
	s_cbranch_scc0 .LBB72_2
; %bb.7:                                ;   in Loop: Header=BB72_3 Depth=1
	s_add_u32 s10, s0, -4
	s_lshl_b64 s[14:15], 1, s10
	s_and_b32 s12, s14, 0x7ffffe
	s_mov_b64 s[26:27], -1
	s_mov_b64 s[24:25], 0
	s_cmp_eq_u64 s[12:13], 0
                                        ; implicit-def: $sgpr22_sgpr23
                                        ; implicit-def: $sgpr14_sgpr15
                                        ; implicit-def: $sgpr30_sgpr31
	s_cbranch_scc0 .LBB72_2
; %bb.8:                                ;   in Loop: Header=BB72_3 Depth=1
	s_add_u32 s14, s0, -3
	s_lshl_b64 s[22:23], 1, s14
	s_and_b32 s12, s22, 0x7ffffe
	s_mov_b64 s[28:29], -1
	s_mov_b64 s[26:27], 0
	s_cmp_eq_u64 s[12:13], 0
                                        ; implicit-def: $sgpr22_sgpr23
                                        ; implicit-def: $sgpr30_sgpr31
	s_cbranch_scc0 .LBB72_2
; %bb.9:                                ;   in Loop: Header=BB72_3 Depth=1
	s_add_u32 s30, s0, -2
	s_lshl_b64 s[22:23], 1, s30
	s_and_b32 s12, s22, 0x7ffffe
	s_mov_b64 s[36:37], -1
	s_mov_b64 s[28:29], 0
	s_cmp_eq_u64 s[12:13], 0
                                        ; implicit-def: $sgpr22_sgpr23
	s_cbranch_scc0 .LBB72_2
; %bb.10:                               ;   in Loop: Header=BB72_3 Depth=1
	s_add_i32 s3, s0, -1
	s_lshl_b64 s[22:23], 1, s3
	s_and_b32 s12, s22, 0x7ffffe
	s_mov_b64 s[34:35], -1
	s_cmp_eq_u64 s[12:13], 0
                                        ; implicit-def: $sgpr22_sgpr23
	s_cbranch_scc0 .LBB72_12
; %bb.11:                               ;   in Loop: Header=BB72_3 Depth=1
	s_lshl_b64 s[22:23], 1, s0
	s_add_i32 s33, s33, 8
	s_and_b32 s12, s22, 0x7ffffe
	s_cmp_lg_u64 s[12:13], 0
	s_cselect_b64 s[38:39], -1, 0
	s_add_u32 s22, s0, 8
	s_addc_u32 s23, s1, 0
	s_mov_b64 s[34:35], 0
.LBB72_12:                              ;   in Loop: Header=BB72_3 Depth=1
	s_mov_b64 s[36:37], 0
	s_branch .LBB72_2
.LBB72_13:
	s_mov_b64 s[12:13], -1
	s_and_b64 vcc, exec, s[16:17]
	s_cbranch_vccnz .LBB72_44
; %bb.14:
	s_xor_b64 s[12:13], s[18:19], -1
	s_andn2_b64 vcc, exec, s[12:13]
	s_cbranch_vccnz .LBB72_43
; %bb.15:
	s_xor_b64 s[12:13], s[20:21], -1
	s_andn2_b64 vcc, exec, s[12:13]
	;; [unrolled: 4-line block ×6, first 2 shown]
	s_cbranch_vccnz .LBB72_26
; %bb.20:
	s_xor_b64 s[12:13], s[34:35], -1
	s_and_b64 vcc, exec, s[12:13]
	s_cbranch_vccz .LBB72_27
; %bb.21:
	s_add_i32 s33, s22, -9
	s_mov_b64 s[12:13], 0
	s_branch .LBB72_28
.LBB72_22:
                                        ; implicit-def: $sgpr33
	s_branch .LBB72_42
.LBB72_23:
                                        ; implicit-def: $sgpr33
	s_branch .LBB72_40
.LBB72_24:
	s_mov_b64 s[10:11], -1
                                        ; implicit-def: $sgpr33
	s_branch .LBB72_37
.LBB72_25:
	s_mov_b64 s[12:13], -1
                                        ; implicit-def: $sgpr33
	s_branch .LBB72_34
.LBB72_26:
	s_mov_b64 s[12:13], -1
                                        ; implicit-def: $sgpr33
	s_branch .LBB72_31
.LBB72_27:
	s_mov_b64 s[12:13], -1
                                        ; implicit-def: $sgpr33
.LBB72_28:
	s_andn2_b64 vcc, exec, s[12:13]
	s_cbranch_vccnz .LBB72_30
; %bb.29:
	s_mov_b32 s33, s30
.LBB72_30:
	s_mov_b64 s[12:13], 0
.LBB72_31:
	s_andn2_b64 vcc, exec, s[12:13]
	s_cbranch_vccnz .LBB72_33
; %bb.32:
	s_mov_b32 s33, s14
.LBB72_33:
	s_mov_b64 s[12:13], 0
.LBB72_34:
	s_andn2_b64 vcc, exec, s[12:13]
	s_cbranch_vccnz .LBB72_36
; %bb.35:
	s_mov_b32 s33, s10
.LBB72_36:
	s_mov_b64 s[10:11], 0
.LBB72_37:
	s_andn2_b64 vcc, exec, s[10:11]
	s_cbranch_vccnz .LBB72_39
; %bb.38:
	s_mov_b32 s33, s8
.LBB72_39:
	s_cbranch_execnz .LBB72_41
.LBB72_40:
	s_mov_b32 s33, s6
.LBB72_41:
	s_cbranch_execnz .LBB72_43
.LBB72_42:
	s_mov_b32 s33, s2
.LBB72_43:
	s_mov_b64 s[12:13], 0
.LBB72_44:
	s_andn2_b64 vcc, exec, s[12:13]
	s_cbranch_vccnz .LBB72_46
; %bb.45:
	s_add_i32 s33, s0, -8
.LBB72_46:
	s_load_dwordx2 s[0:1], s[4:5], 0x0
	s_cmp_gt_u32 s33, 62
	s_cselect_b64 s[2:3], -1, 0
	v_cndmask_b32_e64 v1, 0, 1, s[2:3]
	s_waitcnt lgkmcnt(0)
	global_store_byte v0, v1, s[0:1]
	s_endpgm
	.section	.rodata,"a",@progbits
	.p2align	6, 0x0
	.amdhsa_kernel _Z21device_test_warp_maskILj23EEvP10TestStatus
		.amdhsa_group_segment_fixed_size 0
		.amdhsa_private_segment_fixed_size 0
		.amdhsa_kernarg_size 8
		.amdhsa_user_sgpr_count 6
		.amdhsa_user_sgpr_private_segment_buffer 1
		.amdhsa_user_sgpr_dispatch_ptr 0
		.amdhsa_user_sgpr_queue_ptr 0
		.amdhsa_user_sgpr_kernarg_segment_ptr 1
		.amdhsa_user_sgpr_dispatch_id 0
		.amdhsa_user_sgpr_flat_scratch_init 0
		.amdhsa_user_sgpr_kernarg_preload_length 0
		.amdhsa_user_sgpr_kernarg_preload_offset 0
		.amdhsa_user_sgpr_private_segment_size 0
		.amdhsa_uses_dynamic_stack 0
		.amdhsa_system_sgpr_private_segment_wavefront_offset 0
		.amdhsa_system_sgpr_workgroup_id_x 1
		.amdhsa_system_sgpr_workgroup_id_y 0
		.amdhsa_system_sgpr_workgroup_id_z 0
		.amdhsa_system_sgpr_workgroup_info 0
		.amdhsa_system_vgpr_workitem_id 0
		.amdhsa_next_free_vgpr 2
		.amdhsa_next_free_sgpr 40
		.amdhsa_accum_offset 4
		.amdhsa_reserve_vcc 1
		.amdhsa_reserve_flat_scratch 0
		.amdhsa_float_round_mode_32 0
		.amdhsa_float_round_mode_16_64 0
		.amdhsa_float_denorm_mode_32 3
		.amdhsa_float_denorm_mode_16_64 3
		.amdhsa_dx10_clamp 1
		.amdhsa_ieee_mode 1
		.amdhsa_fp16_overflow 0
		.amdhsa_tg_split 0
		.amdhsa_exception_fp_ieee_invalid_op 0
		.amdhsa_exception_fp_denorm_src 0
		.amdhsa_exception_fp_ieee_div_zero 0
		.amdhsa_exception_fp_ieee_overflow 0
		.amdhsa_exception_fp_ieee_underflow 0
		.amdhsa_exception_fp_ieee_inexact 0
		.amdhsa_exception_int_div_zero 0
	.end_amdhsa_kernel
	.section	.text._Z21device_test_warp_maskILj23EEvP10TestStatus,"axG",@progbits,_Z21device_test_warp_maskILj23EEvP10TestStatus,comdat
.Lfunc_end72:
	.size	_Z21device_test_warp_maskILj23EEvP10TestStatus, .Lfunc_end72-_Z21device_test_warp_maskILj23EEvP10TestStatus
                                        ; -- End function
	.section	.AMDGPU.csdata,"",@progbits
; Kernel info:
; codeLenInByte = 612
; NumSgprs: 44
; NumVgprs: 2
; NumAgprs: 0
; TotalNumVgprs: 2
; ScratchSize: 0
; MemoryBound: 0
; FloatMode: 240
; IeeeMode: 1
; LDSByteSize: 0 bytes/workgroup (compile time only)
; SGPRBlocks: 5
; VGPRBlocks: 0
; NumSGPRsForWavesPerEU: 44
; NumVGPRsForWavesPerEU: 2
; AccumOffset: 4
; Occupancy: 8
; WaveLimiterHint : 0
; COMPUTE_PGM_RSRC2:SCRATCH_EN: 0
; COMPUTE_PGM_RSRC2:USER_SGPR: 6
; COMPUTE_PGM_RSRC2:TRAP_HANDLER: 0
; COMPUTE_PGM_RSRC2:TGID_X_EN: 1
; COMPUTE_PGM_RSRC2:TGID_Y_EN: 0
; COMPUTE_PGM_RSRC2:TGID_Z_EN: 0
; COMPUTE_PGM_RSRC2:TIDIG_COMP_CNT: 0
; COMPUTE_PGM_RSRC3_GFX90A:ACCUM_OFFSET: 0
; COMPUTE_PGM_RSRC3_GFX90A:TG_SPLIT: 0
	.section	.text._Z21device_test_warp_maskILj24EEvP10TestStatus,"axG",@progbits,_Z21device_test_warp_maskILj24EEvP10TestStatus,comdat
	.protected	_Z21device_test_warp_maskILj24EEvP10TestStatus ; -- Begin function _Z21device_test_warp_maskILj24EEvP10TestStatus
	.globl	_Z21device_test_warp_maskILj24EEvP10TestStatus
	.p2align	8
	.type	_Z21device_test_warp_maskILj24EEvP10TestStatus,@function
_Z21device_test_warp_maskILj24EEvP10TestStatus: ; @_Z21device_test_warp_maskILj24EEvP10TestStatus
; %bb.0:
	s_mov_b32 s48, 24
	s_mov_b64 s[42:43], 25
	s_mov_b32 s15, 0
	s_branch .LBB73_4
.LBB73_1:                               ;   in Loop: Header=BB73_4 Depth=1
	s_add_i32 s3, s0, 9
	s_lshl_b64 s[36:37], 1, s3
	s_and_b32 s14, s36, 0x555554
	s_cmp_lg_u64 s[14:15], 0
	s_cselect_b64 s[46:47], -1, 0
	s_add_u32 s42, s0, 10
	s_addc_u32 s43, s1, 0
	s_add_i32 s48, s48, 10
	s_mov_b64 s[36:37], 0
                                        ; implicit-def: $sgpr33
.LBB73_2:                               ;   in Loop: Header=BB73_4 Depth=1
	s_mov_b64 s[40:41], 0
.LBB73_3:                               ;   in Loop: Header=BB73_4 Depth=1
	s_and_b64 vcc, exec, s[46:47]
	s_cbranch_vccnz .LBB73_15
.LBB73_4:                               ; =>This Inner Loop Header: Depth=1
	s_mov_b64 s[0:1], s[42:43]
	s_lshl_b64 s[2:3], 1, s0
	s_and_b32 s14, s2, 0xaaaaaa
	s_mov_b64 s[16:17], -1
	s_cmp_lg_u64 s[14:15], 0
	s_mov_b64 s[36:37], 0
	s_mov_b64 s[40:41], 0
	;; [unrolled: 1-line block ×9, first 2 shown]
	s_mov_b64 s[46:47], -1
                                        ; implicit-def: $sgpr42_sgpr43
                                        ; implicit-def: $sgpr33
                                        ; implicit-def: $sgpr2_sgpr3
                                        ; implicit-def: $sgpr6_sgpr7
                                        ; implicit-def: $sgpr8_sgpr9
                                        ; implicit-def: $sgpr10_sgpr11
                                        ; implicit-def: $sgpr12_sgpr13
                                        ; implicit-def: $sgpr20_sgpr21
                                        ; implicit-def: $sgpr38_sgpr39
                                        ; implicit-def: $sgpr44_sgpr45
	s_cbranch_scc1 .LBB73_3
; %bb.5:                                ;   in Loop: Header=BB73_4 Depth=1
	s_add_u32 s2, s0, 1
	s_lshl_b64 s[6:7], 1, s2
	s_and_b32 s14, s6, 0x555554
	s_mov_b64 s[18:19], -1
	s_mov_b64 s[16:17], 0
	s_cmp_eq_u64 s[14:15], 0
                                        ; implicit-def: $sgpr42_sgpr43
                                        ; implicit-def: $sgpr33
                                        ; implicit-def: $sgpr6_sgpr7
                                        ; implicit-def: $sgpr8_sgpr9
                                        ; implicit-def: $sgpr10_sgpr11
                                        ; implicit-def: $sgpr12_sgpr13
                                        ; implicit-def: $sgpr20_sgpr21
                                        ; implicit-def: $sgpr38_sgpr39
                                        ; implicit-def: $sgpr44_sgpr45
	s_cbranch_scc0 .LBB73_3
; %bb.6:                                ;   in Loop: Header=BB73_4 Depth=1
	s_add_u32 s6, s0, 2
	s_lshl_b64 s[8:9], 1, s6
	s_and_b32 s14, s8, 0xaaaaaa
	s_mov_b64 s[22:23], -1
	s_mov_b64 s[18:19], 0
	s_cmp_eq_u64 s[14:15], 0
                                        ; implicit-def: $sgpr42_sgpr43
                                        ; implicit-def: $sgpr33
                                        ; implicit-def: $sgpr8_sgpr9
                                        ; implicit-def: $sgpr10_sgpr11
                                        ; implicit-def: $sgpr12_sgpr13
                                        ; implicit-def: $sgpr20_sgpr21
                                        ; implicit-def: $sgpr38_sgpr39
                                        ; implicit-def: $sgpr44_sgpr45
	s_cbranch_scc0 .LBB73_3
; %bb.7:                                ;   in Loop: Header=BB73_4 Depth=1
	s_add_u32 s8, s0, 3
	s_lshl_b64 s[10:11], 1, s8
	s_and_b32 s14, s10, 0x555554
	s_mov_b64 s[24:25], -1
	s_mov_b64 s[22:23], 0
	s_cmp_eq_u64 s[14:15], 0
                                        ; implicit-def: $sgpr42_sgpr43
                                        ; implicit-def: $sgpr33
                                        ; implicit-def: $sgpr10_sgpr11
                                        ; implicit-def: $sgpr12_sgpr13
                                        ; implicit-def: $sgpr20_sgpr21
                                        ; implicit-def: $sgpr38_sgpr39
                                        ; implicit-def: $sgpr44_sgpr45
	s_cbranch_scc0 .LBB73_3
; %bb.8:                                ;   in Loop: Header=BB73_4 Depth=1
	s_add_u32 s10, s0, 4
	s_lshl_b64 s[12:13], 1, s10
	s_and_b32 s14, s12, 0xaaaaaa
	s_mov_b64 s[26:27], -1
	s_mov_b64 s[24:25], 0
	s_cmp_eq_u64 s[14:15], 0
                                        ; implicit-def: $sgpr42_sgpr43
                                        ; implicit-def: $sgpr33
                                        ; implicit-def: $sgpr12_sgpr13
                                        ; implicit-def: $sgpr20_sgpr21
                                        ; implicit-def: $sgpr38_sgpr39
                                        ; implicit-def: $sgpr44_sgpr45
	s_cbranch_scc0 .LBB73_3
; %bb.9:                                ;   in Loop: Header=BB73_4 Depth=1
	s_add_u32 s12, s0, 5
	s_lshl_b64 s[20:21], 1, s12
	s_and_b32 s14, s20, 0x555554
	s_mov_b64 s[28:29], -1
	s_mov_b64 s[26:27], 0
	s_cmp_eq_u64 s[14:15], 0
                                        ; implicit-def: $sgpr42_sgpr43
                                        ; implicit-def: $sgpr33
                                        ; implicit-def: $sgpr20_sgpr21
                                        ; implicit-def: $sgpr38_sgpr39
                                        ; implicit-def: $sgpr44_sgpr45
	s_cbranch_scc0 .LBB73_3
; %bb.10:                               ;   in Loop: Header=BB73_4 Depth=1
	s_add_u32 s20, s0, 6
	s_lshl_b64 s[28:29], 1, s20
	s_and_b32 s14, s28, 0xaaaaaa
	s_mov_b64 s[30:31], -1
	s_mov_b64 s[28:29], 0
	s_cmp_eq_u64 s[14:15], 0
                                        ; implicit-def: $sgpr42_sgpr43
                                        ; implicit-def: $sgpr33
                                        ; implicit-def: $sgpr38_sgpr39
                                        ; implicit-def: $sgpr44_sgpr45
	s_cbranch_scc0 .LBB73_3
; %bb.11:                               ;   in Loop: Header=BB73_4 Depth=1
	s_add_u32 s38, s0, 7
	s_lshl_b64 s[30:31], 1, s38
	s_and_b32 s14, s30, 0x555554
	s_mov_b64 s[34:35], -1
	s_mov_b64 s[30:31], 0
	s_cmp_eq_u64 s[14:15], 0
                                        ; implicit-def: $sgpr42_sgpr43
                                        ; implicit-def: $sgpr33
                                        ; implicit-def: $sgpr44_sgpr45
	s_cbranch_scc0 .LBB73_3
; %bb.12:                               ;   in Loop: Header=BB73_4 Depth=1
	s_add_u32 s44, s0, 8
	s_lshl_b64 s[34:35], 1, s44
	s_and_b32 s14, s34, 0xaaaaaa
	s_mov_b64 s[40:41], -1
	s_mov_b64 s[34:35], 0
	s_cmp_eq_u64 s[14:15], 0
                                        ; implicit-def: $sgpr42_sgpr43
                                        ; implicit-def: $sgpr33
	s_cbranch_scc0 .LBB73_3
; %bb.13:                               ;   in Loop: Header=BB73_4 Depth=1
	s_cmp_lg_u32 s0, 55
	s_cbranch_scc1 .LBB73_1
; %bb.14:                               ;   in Loop: Header=BB73_4 Depth=1
	s_add_i32 s33, s48, 9
	s_mov_b64 s[36:37], -1
                                        ; implicit-def: $sgpr48
                                        ; implicit-def: $sgpr42_sgpr43
	s_branch .LBB73_2
.LBB73_15:
	s_mov_b64 s[14:15], -1
	s_and_b64 vcc, exec, s[16:17]
	s_cbranch_vccnz .LBB73_56
; %bb.16:
	s_xor_b64 s[14:15], s[18:19], -1
	s_andn2_b64 vcc, exec, s[14:15]
	s_cbranch_vccnz .LBB73_27
; %bb.17:
	s_xor_b64 s[14:15], s[22:23], -1
	s_andn2_b64 vcc, exec, s[14:15]
	;; [unrolled: 4-line block ×8, first 2 shown]
	s_cbranch_vccnz .LBB73_34
; %bb.24:
	s_xor_b64 s[14:15], s[36:37], -1
	s_and_b64 vcc, exec, s[14:15]
	s_cbranch_vccz .LBB73_26
; %bb.25:
	s_mov_b32 s33, s44
.LBB73_26:
	s_mov_b64 s[14:15], 0
	s_branch .LBB73_35
.LBB73_27:
                                        ; implicit-def: $sgpr33
	s_branch .LBB73_54
.LBB73_28:
                                        ; implicit-def: $sgpr33
	s_branch .LBB73_52
.LBB73_29:
                                        ; implicit-def: $sgpr33
	s_branch .LBB73_50
.LBB73_30:
	s_mov_b64 s[10:11], -1
                                        ; implicit-def: $sgpr33
	s_branch .LBB73_47
.LBB73_31:
	s_mov_b64 s[12:13], -1
                                        ; implicit-def: $sgpr33
	s_branch .LBB73_44
.LBB73_32:
	s_mov_b64 s[14:15], -1
                                        ; implicit-def: $sgpr33
	s_branch .LBB73_41
.LBB73_33:
	s_mov_b64 s[14:15], -1
                                        ; implicit-def: $sgpr33
	s_branch .LBB73_38
.LBB73_34:
	s_mov_b64 s[14:15], -1
                                        ; implicit-def: $sgpr33
.LBB73_35:
	s_andn2_b64 vcc, exec, s[14:15]
	s_cbranch_vccnz .LBB73_37
; %bb.36:
	s_mov_b32 s33, s38
.LBB73_37:
	s_mov_b64 s[14:15], 0
.LBB73_38:
	s_andn2_b64 vcc, exec, s[14:15]
	s_cbranch_vccnz .LBB73_40
; %bb.39:
	s_mov_b32 s33, s20
.LBB73_40:
	s_mov_b64 s[14:15], 0
.LBB73_41:
	s_andn2_b64 vcc, exec, s[14:15]
	s_cbranch_vccnz .LBB73_43
; %bb.42:
	s_mov_b32 s33, s12
.LBB73_43:
	s_mov_b64 s[12:13], 0
.LBB73_44:
	s_andn2_b64 vcc, exec, s[12:13]
	s_cbranch_vccnz .LBB73_46
; %bb.45:
	s_mov_b32 s33, s10
.LBB73_46:
	s_mov_b64 s[10:11], 0
.LBB73_47:
	s_andn2_b64 vcc, exec, s[10:11]
	s_cbranch_vccnz .LBB73_49
; %bb.48:
	s_mov_b32 s33, s8
.LBB73_49:
	s_cbranch_execnz .LBB73_51
.LBB73_50:
	s_mov_b32 s33, s6
.LBB73_51:
	s_cbranch_execnz .LBB73_53
.LBB73_52:
	s_mov_b32 s33, s2
.LBB73_53:
	s_cbranch_execnz .LBB73_55
.LBB73_54:
	s_mov_b32 s33, s0
.LBB73_55:
	s_mov_b64 s[14:15], 0
.LBB73_56:
	s_andn2_b64 vcc, exec, s[14:15]
	s_cbranch_vccnz .LBB73_58
; %bb.57:
	s_add_i32 s33, s0, -1
.LBB73_58:
	s_load_dwordx2 s[0:1], s[4:5], 0x0
	s_cmp_gt_u32 s33, 62
	s_cselect_b64 s[2:3], -1, 0
	v_cndmask_b32_e64 v1, 0, 1, s[2:3]
	s_waitcnt lgkmcnt(0)
	global_store_byte v0, v1, s[0:1]
	s_endpgm
	.section	.rodata,"a",@progbits
	.p2align	6, 0x0
	.amdhsa_kernel _Z21device_test_warp_maskILj24EEvP10TestStatus
		.amdhsa_group_segment_fixed_size 0
		.amdhsa_private_segment_fixed_size 0
		.amdhsa_kernarg_size 8
		.amdhsa_user_sgpr_count 6
		.amdhsa_user_sgpr_private_segment_buffer 1
		.amdhsa_user_sgpr_dispatch_ptr 0
		.amdhsa_user_sgpr_queue_ptr 0
		.amdhsa_user_sgpr_kernarg_segment_ptr 1
		.amdhsa_user_sgpr_dispatch_id 0
		.amdhsa_user_sgpr_flat_scratch_init 0
		.amdhsa_user_sgpr_kernarg_preload_length 0
		.amdhsa_user_sgpr_kernarg_preload_offset 0
		.amdhsa_user_sgpr_private_segment_size 0
		.amdhsa_uses_dynamic_stack 0
		.amdhsa_system_sgpr_private_segment_wavefront_offset 0
		.amdhsa_system_sgpr_workgroup_id_x 1
		.amdhsa_system_sgpr_workgroup_id_y 0
		.amdhsa_system_sgpr_workgroup_id_z 0
		.amdhsa_system_sgpr_workgroup_info 0
		.amdhsa_system_vgpr_workitem_id 0
		.amdhsa_next_free_vgpr 2
		.amdhsa_next_free_sgpr 49
		.amdhsa_accum_offset 4
		.amdhsa_reserve_vcc 1
		.amdhsa_reserve_flat_scratch 0
		.amdhsa_float_round_mode_32 0
		.amdhsa_float_round_mode_16_64 0
		.amdhsa_float_denorm_mode_32 3
		.amdhsa_float_denorm_mode_16_64 3
		.amdhsa_dx10_clamp 1
		.amdhsa_ieee_mode 1
		.amdhsa_fp16_overflow 0
		.amdhsa_tg_split 0
		.amdhsa_exception_fp_ieee_invalid_op 0
		.amdhsa_exception_fp_denorm_src 0
		.amdhsa_exception_fp_ieee_div_zero 0
		.amdhsa_exception_fp_ieee_overflow 0
		.amdhsa_exception_fp_ieee_underflow 0
		.amdhsa_exception_fp_ieee_inexact 0
		.amdhsa_exception_int_div_zero 0
	.end_amdhsa_kernel
	.section	.text._Z21device_test_warp_maskILj24EEvP10TestStatus,"axG",@progbits,_Z21device_test_warp_maskILj24EEvP10TestStatus,comdat
.Lfunc_end73:
	.size	_Z21device_test_warp_maskILj24EEvP10TestStatus, .Lfunc_end73-_Z21device_test_warp_maskILj24EEvP10TestStatus
                                        ; -- End function
	.section	.AMDGPU.csdata,"",@progbits
; Kernel info:
; codeLenInByte = 748
; NumSgprs: 53
; NumVgprs: 2
; NumAgprs: 0
; TotalNumVgprs: 2
; ScratchSize: 0
; MemoryBound: 0
; FloatMode: 240
; IeeeMode: 1
; LDSByteSize: 0 bytes/workgroup (compile time only)
; SGPRBlocks: 6
; VGPRBlocks: 0
; NumSGPRsForWavesPerEU: 53
; NumVGPRsForWavesPerEU: 2
; AccumOffset: 4
; Occupancy: 8
; WaveLimiterHint : 0
; COMPUTE_PGM_RSRC2:SCRATCH_EN: 0
; COMPUTE_PGM_RSRC2:USER_SGPR: 6
; COMPUTE_PGM_RSRC2:TRAP_HANDLER: 0
; COMPUTE_PGM_RSRC2:TGID_X_EN: 1
; COMPUTE_PGM_RSRC2:TGID_Y_EN: 0
; COMPUTE_PGM_RSRC2:TGID_Z_EN: 0
; COMPUTE_PGM_RSRC2:TIDIG_COMP_CNT: 0
; COMPUTE_PGM_RSRC3_GFX90A:ACCUM_OFFSET: 0
; COMPUTE_PGM_RSRC3_GFX90A:TG_SPLIT: 0
	.section	.text._Z21device_test_warp_maskILj25EEvP10TestStatus,"axG",@progbits,_Z21device_test_warp_maskILj25EEvP10TestStatus,comdat
	.protected	_Z21device_test_warp_maskILj25EEvP10TestStatus ; -- Begin function _Z21device_test_warp_maskILj25EEvP10TestStatus
	.globl	_Z21device_test_warp_maskILj25EEvP10TestStatus
	.p2align	8
	.type	_Z21device_test_warp_maskILj25EEvP10TestStatus,@function
_Z21device_test_warp_maskILj25EEvP10TestStatus: ; @_Z21device_test_warp_maskILj25EEvP10TestStatus
; %bb.0:
	s_mov_b32 s61, 25
	s_mov_b64 s[52:53], 38
	s_mov_b32 s17, 0
	s_branch .LBB74_3
.LBB74_1:                               ;   in Loop: Header=BB74_3 Depth=1
	s_mov_b64 s[50:51], 0
.LBB74_2:                               ;   in Loop: Header=BB74_3 Depth=1
	s_and_b64 vcc, exec, s[58:59]
	s_cbranch_vccnz .LBB74_17
.LBB74_3:                               ; =>This Inner Loop Header: Depth=1
	s_mov_b64 s[0:1], s[52:53]
	s_add_u32 s33, s0, -12
	s_lshl_b64 s[2:3], 1, s33
	s_and_b32 s16, s2, 0x1fffffe
	s_cmp_lg_u64 s[16:17], 0
	s_mov_b64 s[38:39], 0
	s_mov_b64 s[50:51], 0
	;; [unrolled: 1-line block ×12, first 2 shown]
	s_mov_b64 s[22:23], -1
	s_mov_b64 s[58:59], -1
                                        ; implicit-def: $sgpr52_sgpr53
                                        ; implicit-def: $sgpr60
                                        ; implicit-def: $sgpr2_sgpr3
                                        ; implicit-def: $sgpr6_sgpr7
                                        ; implicit-def: $sgpr8_sgpr9
                                        ; implicit-def: $sgpr10_sgpr11
                                        ; implicit-def: $sgpr12_sgpr13
                                        ; implicit-def: $sgpr14_sgpr15
                                        ; implicit-def: $sgpr18_sgpr19
                                        ; implicit-def: $sgpr26_sgpr27
                                        ; implicit-def: $sgpr48_sgpr49
                                        ; implicit-def: $sgpr54_sgpr55
                                        ; implicit-def: $sgpr56_sgpr57
	s_cbranch_scc1 .LBB74_2
; %bb.4:                                ;   in Loop: Header=BB74_3 Depth=1
	s_add_u32 s2, s0, -11
	s_lshl_b64 s[6:7], 1, s2
	s_and_b32 s16, s6, 0x1fffffe
	s_mov_b64 s[20:21], -1
	s_mov_b64 s[22:23], 0
	s_cmp_eq_u64 s[16:17], 0
                                        ; implicit-def: $sgpr52_sgpr53
                                        ; implicit-def: $sgpr60
                                        ; implicit-def: $sgpr6_sgpr7
                                        ; implicit-def: $sgpr8_sgpr9
                                        ; implicit-def: $sgpr10_sgpr11
                                        ; implicit-def: $sgpr12_sgpr13
                                        ; implicit-def: $sgpr14_sgpr15
                                        ; implicit-def: $sgpr18_sgpr19
                                        ; implicit-def: $sgpr26_sgpr27
                                        ; implicit-def: $sgpr48_sgpr49
                                        ; implicit-def: $sgpr54_sgpr55
                                        ; implicit-def: $sgpr56_sgpr57
	s_cbranch_scc0 .LBB74_2
; %bb.5:                                ;   in Loop: Header=BB74_3 Depth=1
	s_add_u32 s6, s0, -10
	s_lshl_b64 s[8:9], 1, s6
	s_and_b32 s16, s8, 0x1fffffe
	s_mov_b64 s[24:25], -1
	s_mov_b64 s[20:21], 0
	s_cmp_eq_u64 s[16:17], 0
                                        ; implicit-def: $sgpr52_sgpr53
                                        ; implicit-def: $sgpr60
                                        ; implicit-def: $sgpr8_sgpr9
                                        ; implicit-def: $sgpr10_sgpr11
                                        ; implicit-def: $sgpr12_sgpr13
                                        ; implicit-def: $sgpr14_sgpr15
                                        ; implicit-def: $sgpr18_sgpr19
                                        ; implicit-def: $sgpr26_sgpr27
                                        ; implicit-def: $sgpr48_sgpr49
                                        ; implicit-def: $sgpr54_sgpr55
                                        ; implicit-def: $sgpr56_sgpr57
	s_cbranch_scc0 .LBB74_2
; %bb.6:                                ;   in Loop: Header=BB74_3 Depth=1
	s_add_u32 s8, s0, -9
	s_lshl_b64 s[10:11], 1, s8
	s_and_b32 s16, s10, 0x1fffffe
	s_mov_b64 s[28:29], -1
	s_mov_b64 s[24:25], 0
	s_cmp_eq_u64 s[16:17], 0
                                        ; implicit-def: $sgpr52_sgpr53
                                        ; implicit-def: $sgpr60
                                        ; implicit-def: $sgpr10_sgpr11
                                        ; implicit-def: $sgpr12_sgpr13
                                        ; implicit-def: $sgpr14_sgpr15
                                        ; implicit-def: $sgpr18_sgpr19
                                        ; implicit-def: $sgpr26_sgpr27
                                        ; implicit-def: $sgpr48_sgpr49
                                        ; implicit-def: $sgpr54_sgpr55
                                        ; implicit-def: $sgpr56_sgpr57
	s_cbranch_scc0 .LBB74_2
; %bb.7:                                ;   in Loop: Header=BB74_3 Depth=1
	s_add_u32 s10, s0, -8
	s_lshl_b64 s[12:13], 1, s10
	s_and_b32 s16, s12, 0x1fffffe
	s_mov_b64 s[30:31], -1
	s_mov_b64 s[28:29], 0
	s_cmp_eq_u64 s[16:17], 0
                                        ; implicit-def: $sgpr52_sgpr53
                                        ; implicit-def: $sgpr60
                                        ; implicit-def: $sgpr12_sgpr13
                                        ; implicit-def: $sgpr14_sgpr15
                                        ; implicit-def: $sgpr18_sgpr19
                                        ; implicit-def: $sgpr26_sgpr27
                                        ; implicit-def: $sgpr48_sgpr49
                                        ; implicit-def: $sgpr54_sgpr55
                                        ; implicit-def: $sgpr56_sgpr57
	s_cbranch_scc0 .LBB74_2
; %bb.8:                                ;   in Loop: Header=BB74_3 Depth=1
	s_add_u32 s12, s0, -7
	s_lshl_b64 s[14:15], 1, s12
	s_and_b32 s16, s14, 0x1fffffe
	s_mov_b64 s[34:35], -1
	s_mov_b64 s[30:31], 0
	s_cmp_eq_u64 s[16:17], 0
                                        ; implicit-def: $sgpr52_sgpr53
                                        ; implicit-def: $sgpr60
                                        ; implicit-def: $sgpr14_sgpr15
                                        ; implicit-def: $sgpr18_sgpr19
                                        ; implicit-def: $sgpr26_sgpr27
                                        ; implicit-def: $sgpr48_sgpr49
                                        ; implicit-def: $sgpr54_sgpr55
                                        ; implicit-def: $sgpr56_sgpr57
	s_cbranch_scc0 .LBB74_2
; %bb.9:                                ;   in Loop: Header=BB74_3 Depth=1
	s_add_u32 s14, s0, -6
	s_lshl_b64 s[18:19], 1, s14
	s_and_b32 s16, s18, 0x1fffffe
	s_mov_b64 s[36:37], -1
	s_mov_b64 s[34:35], 0
	s_cmp_eq_u64 s[16:17], 0
                                        ; implicit-def: $sgpr52_sgpr53
                                        ; implicit-def: $sgpr60
                                        ; implicit-def: $sgpr18_sgpr19
                                        ; implicit-def: $sgpr26_sgpr27
                                        ; implicit-def: $sgpr48_sgpr49
                                        ; implicit-def: $sgpr54_sgpr55
                                        ; implicit-def: $sgpr56_sgpr57
	s_cbranch_scc0 .LBB74_2
; %bb.10:                               ;   in Loop: Header=BB74_3 Depth=1
	s_add_u32 s18, s0, -5
	s_lshl_b64 s[26:27], 1, s18
	s_and_b32 s16, s26, 0x1fffffe
	s_mov_b64 s[40:41], -1
	s_mov_b64 s[36:37], 0
	s_cmp_eq_u64 s[16:17], 0
                                        ; implicit-def: $sgpr52_sgpr53
                                        ; implicit-def: $sgpr60
                                        ; implicit-def: $sgpr26_sgpr27
                                        ; implicit-def: $sgpr48_sgpr49
                                        ; implicit-def: $sgpr54_sgpr55
                                        ; implicit-def: $sgpr56_sgpr57
	s_cbranch_scc0 .LBB74_2
; %bb.11:                               ;   in Loop: Header=BB74_3 Depth=1
	s_add_u32 s26, s0, -4
	s_lshl_b64 s[38:39], 1, s26
	s_and_b32 s16, s38, 0x1fffffe
	s_mov_b64 s[42:43], -1
	s_mov_b64 s[40:41], 0
	s_cmp_eq_u64 s[16:17], 0
	s_mov_b64 s[38:39], 0
                                        ; implicit-def: $sgpr52_sgpr53
                                        ; implicit-def: $sgpr60
                                        ; implicit-def: $sgpr48_sgpr49
                                        ; implicit-def: $sgpr54_sgpr55
                                        ; implicit-def: $sgpr56_sgpr57
	s_cbranch_scc0 .LBB74_2
; %bb.12:                               ;   in Loop: Header=BB74_3 Depth=1
	s_add_u32 s48, s0, -3
	s_lshl_b64 s[38:39], 1, s48
	s_and_b32 s16, s38, 0x1fffffe
	s_mov_b64 s[46:47], -1
	s_mov_b64 s[42:43], 0
	s_cmp_eq_u64 s[16:17], 0
	s_mov_b64 s[38:39], 0
                                        ; implicit-def: $sgpr52_sgpr53
                                        ; implicit-def: $sgpr60
                                        ; implicit-def: $sgpr54_sgpr55
                                        ; implicit-def: $sgpr56_sgpr57
	s_cbranch_scc0 .LBB74_2
; %bb.13:                               ;   in Loop: Header=BB74_3 Depth=1
	s_add_u32 s54, s0, -2
	s_lshl_b64 s[38:39], 1, s54
	s_and_b32 s16, s38, 0x1fffffe
	s_mov_b64 s[44:45], -1
	s_mov_b64 s[46:47], 0
	s_cmp_eq_u64 s[16:17], 0
	s_mov_b64 s[38:39], 0
                                        ; implicit-def: $sgpr52_sgpr53
                                        ; implicit-def: $sgpr60
                                        ; implicit-def: $sgpr56_sgpr57
	s_cbranch_scc0 .LBB74_2
; %bb.14:                               ;   in Loop: Header=BB74_3 Depth=1
	s_add_u32 s56, s0, -1
	s_lshl_b64 s[38:39], 1, s56
	s_and_b32 s16, s38, 0x1fffffe
	s_mov_b64 s[50:51], -1
	s_mov_b64 s[44:45], 0
	s_cmp_eq_u64 s[16:17], 0
	s_mov_b64 s[38:39], 0
                                        ; implicit-def: $sgpr52_sgpr53
                                        ; implicit-def: $sgpr60
	s_cbranch_scc0 .LBB74_2
; %bb.15:                               ;   in Loop: Header=BB74_3 Depth=1
	s_mov_b64 s[38:39], -1
	s_cmp_lg_u32 s0, 64
                                        ; implicit-def: $sgpr52_sgpr53
                                        ; implicit-def: $sgpr60
	s_cbranch_scc0 .LBB74_1
; %bb.16:                               ;   in Loop: Header=BB74_3 Depth=1
	s_lshl_b64 s[38:39], 1, s0
	s_add_i32 s60, s61, 12
	s_and_b32 s16, s38, 0x1fffffe
	s_cmp_lg_u64 s[16:17], 0
	s_cselect_b64 s[58:59], -1, 0
	s_add_u32 s52, s0, 13
	s_addc_u32 s53, s1, 0
	s_add_i32 s61, s61, 13
	s_mov_b64 s[38:39], 0
	s_branch .LBB74_1
.LBB74_17:
	s_mov_b64 s[16:17], -1
	s_and_b64 vcc, exec, s[22:23]
	s_cbranch_vccnz .LBB74_73
; %bb.18:
	s_xor_b64 s[16:17], s[20:21], -1
	s_andn2_b64 vcc, exec, s[16:17]
	s_cbranch_vccnz .LBB74_32
; %bb.19:
	s_xor_b64 s[16:17], s[24:25], -1
	s_andn2_b64 vcc, exec, s[16:17]
	;; [unrolled: 4-line block ×11, first 2 shown]
	s_cbranch_vccnz .LBB74_42
; %bb.29:
	s_and_b64 vcc, exec, s[38:39]
	s_cbranch_vccz .LBB74_31
; %bb.30:
	s_mov_b32 s60, s56
.LBB74_31:
	s_mov_b64 s[16:17], 0
	s_branch .LBB74_43
.LBB74_32:
                                        ; implicit-def: $sgpr60
	s_branch .LBB74_71
.LBB74_33:
                                        ; implicit-def: $sgpr60
	s_branch .LBB74_69
.LBB74_34:
                                        ; implicit-def: $sgpr60
	s_branch .LBB74_67
.LBB74_35:
	s_mov_b64 s[10:11], -1
                                        ; implicit-def: $sgpr60
	s_branch .LBB74_64
.LBB74_36:
	s_mov_b64 s[12:13], -1
                                        ; implicit-def: $sgpr60
	s_branch .LBB74_61
.LBB74_37:
	s_mov_b64 s[14:15], -1
                                        ; implicit-def: $sgpr60
	s_branch .LBB74_58
.LBB74_38:
	s_mov_b64 s[16:17], -1
                                        ; implicit-def: $sgpr60
	s_branch .LBB74_55
.LBB74_39:
	s_mov_b64 s[16:17], -1
                                        ; implicit-def: $sgpr60
	s_branch .LBB74_52
.LBB74_40:
	s_mov_b64 s[16:17], -1
                                        ; implicit-def: $sgpr60
	s_branch .LBB74_49
.LBB74_41:
	s_mov_b64 s[16:17], -1
                                        ; implicit-def: $sgpr60
	s_branch .LBB74_46
.LBB74_42:
	s_mov_b64 s[16:17], -1
                                        ; implicit-def: $sgpr60
.LBB74_43:
	s_andn2_b64 vcc, exec, s[16:17]
	s_cbranch_vccnz .LBB74_45
; %bb.44:
	s_mov_b32 s60, s54
.LBB74_45:
	s_mov_b64 s[16:17], 0
.LBB74_46:
	s_andn2_b64 vcc, exec, s[16:17]
	s_cbranch_vccnz .LBB74_48
; %bb.47:
	s_mov_b32 s60, s48
.LBB74_48:
	s_mov_b64 s[16:17], 0
.LBB74_49:
	s_andn2_b64 vcc, exec, s[16:17]
	s_cbranch_vccnz .LBB74_51
; %bb.50:
	s_mov_b32 s60, s26
.LBB74_51:
	s_mov_b64 s[16:17], 0
.LBB74_52:
	s_andn2_b64 vcc, exec, s[16:17]
	s_cbranch_vccnz .LBB74_54
; %bb.53:
	s_mov_b32 s60, s18
.LBB74_54:
	s_mov_b64 s[16:17], 0
.LBB74_55:
	s_andn2_b64 vcc, exec, s[16:17]
	s_cbranch_vccnz .LBB74_57
; %bb.56:
	s_mov_b32 s60, s14
.LBB74_57:
	s_mov_b64 s[14:15], 0
.LBB74_58:
	s_andn2_b64 vcc, exec, s[14:15]
	s_cbranch_vccnz .LBB74_60
; %bb.59:
	s_mov_b32 s60, s12
.LBB74_60:
	s_mov_b64 s[12:13], 0
.LBB74_61:
	s_andn2_b64 vcc, exec, s[12:13]
	s_cbranch_vccnz .LBB74_63
; %bb.62:
	s_mov_b32 s60, s10
.LBB74_63:
	s_mov_b64 s[10:11], 0
.LBB74_64:
	s_andn2_b64 vcc, exec, s[10:11]
	s_cbranch_vccnz .LBB74_66
; %bb.65:
	s_mov_b32 s60, s8
.LBB74_66:
	s_cbranch_execnz .LBB74_68
.LBB74_67:
	s_mov_b32 s60, s6
.LBB74_68:
	s_cbranch_execnz .LBB74_70
.LBB74_69:
	s_mov_b32 s60, s2
.LBB74_70:
	s_cbranch_execnz .LBB74_72
.LBB74_71:
	s_mov_b32 s60, s33
.LBB74_72:
	s_mov_b64 s[16:17], 0
.LBB74_73:
	s_andn2_b64 vcc, exec, s[16:17]
	s_cbranch_vccnz .LBB74_75
; %bb.74:
	s_add_i32 s60, s0, -13
.LBB74_75:
	s_load_dwordx2 s[0:1], s[4:5], 0x0
	s_cmp_gt_u32 s60, 62
	s_cselect_b64 s[2:3], -1, 0
	v_cndmask_b32_e64 v1, 0, 1, s[2:3]
	s_waitcnt lgkmcnt(0)
	global_store_byte v0, v1, s[0:1]
	s_endpgm
	.section	.rodata,"a",@progbits
	.p2align	6, 0x0
	.amdhsa_kernel _Z21device_test_warp_maskILj25EEvP10TestStatus
		.amdhsa_group_segment_fixed_size 0
		.amdhsa_private_segment_fixed_size 0
		.amdhsa_kernarg_size 8
		.amdhsa_user_sgpr_count 6
		.amdhsa_user_sgpr_private_segment_buffer 1
		.amdhsa_user_sgpr_dispatch_ptr 0
		.amdhsa_user_sgpr_queue_ptr 0
		.amdhsa_user_sgpr_kernarg_segment_ptr 1
		.amdhsa_user_sgpr_dispatch_id 0
		.amdhsa_user_sgpr_flat_scratch_init 0
		.amdhsa_user_sgpr_kernarg_preload_length 0
		.amdhsa_user_sgpr_kernarg_preload_offset 0
		.amdhsa_user_sgpr_private_segment_size 0
		.amdhsa_uses_dynamic_stack 0
		.amdhsa_system_sgpr_private_segment_wavefront_offset 0
		.amdhsa_system_sgpr_workgroup_id_x 1
		.amdhsa_system_sgpr_workgroup_id_y 0
		.amdhsa_system_sgpr_workgroup_id_z 0
		.amdhsa_system_sgpr_workgroup_info 0
		.amdhsa_system_vgpr_workitem_id 0
		.amdhsa_next_free_vgpr 2
		.amdhsa_next_free_sgpr 62
		.amdhsa_accum_offset 4
		.amdhsa_reserve_vcc 1
		.amdhsa_reserve_flat_scratch 0
		.amdhsa_float_round_mode_32 0
		.amdhsa_float_round_mode_16_64 0
		.amdhsa_float_denorm_mode_32 3
		.amdhsa_float_denorm_mode_16_64 3
		.amdhsa_dx10_clamp 1
		.amdhsa_ieee_mode 1
		.amdhsa_fp16_overflow 0
		.amdhsa_tg_split 0
		.amdhsa_exception_fp_ieee_invalid_op 0
		.amdhsa_exception_fp_denorm_src 0
		.amdhsa_exception_fp_ieee_div_zero 0
		.amdhsa_exception_fp_ieee_overflow 0
		.amdhsa_exception_fp_ieee_underflow 0
		.amdhsa_exception_fp_ieee_inexact 0
		.amdhsa_exception_int_div_zero 0
	.end_amdhsa_kernel
	.section	.text._Z21device_test_warp_maskILj25EEvP10TestStatus,"axG",@progbits,_Z21device_test_warp_maskILj25EEvP10TestStatus,comdat
.Lfunc_end74:
	.size	_Z21device_test_warp_maskILj25EEvP10TestStatus, .Lfunc_end74-_Z21device_test_warp_maskILj25EEvP10TestStatus
                                        ; -- End function
	.section	.AMDGPU.csdata,"",@progbits
; Kernel info:
; codeLenInByte = 976
; NumSgprs: 66
; NumVgprs: 2
; NumAgprs: 0
; TotalNumVgprs: 2
; ScratchSize: 0
; MemoryBound: 0
; FloatMode: 240
; IeeeMode: 1
; LDSByteSize: 0 bytes/workgroup (compile time only)
; SGPRBlocks: 8
; VGPRBlocks: 0
; NumSGPRsForWavesPerEU: 66
; NumVGPRsForWavesPerEU: 2
; AccumOffset: 4
; Occupancy: 8
; WaveLimiterHint : 0
; COMPUTE_PGM_RSRC2:SCRATCH_EN: 0
; COMPUTE_PGM_RSRC2:USER_SGPR: 6
; COMPUTE_PGM_RSRC2:TRAP_HANDLER: 0
; COMPUTE_PGM_RSRC2:TGID_X_EN: 1
; COMPUTE_PGM_RSRC2:TGID_Y_EN: 0
; COMPUTE_PGM_RSRC2:TGID_Z_EN: 0
; COMPUTE_PGM_RSRC2:TIDIG_COMP_CNT: 0
; COMPUTE_PGM_RSRC3_GFX90A:ACCUM_OFFSET: 0
; COMPUTE_PGM_RSRC3_GFX90A:TG_SPLIT: 0
	.section	.text._Z21device_test_warp_maskILj26EEvP10TestStatus,"axG",@progbits,_Z21device_test_warp_maskILj26EEvP10TestStatus,comdat
	.protected	_Z21device_test_warp_maskILj26EEvP10TestStatus ; -- Begin function _Z21device_test_warp_maskILj26EEvP10TestStatus
	.globl	_Z21device_test_warp_maskILj26EEvP10TestStatus
	.p2align	8
	.type	_Z21device_test_warp_maskILj26EEvP10TestStatus,@function
_Z21device_test_warp_maskILj26EEvP10TestStatus: ; @_Z21device_test_warp_maskILj26EEvP10TestStatus
; %bb.0:
	s_mov_b32 s12, 26
	s_mov_b64 s[6:7], 27
	s_mov_b32 s3, 0
	s_branch .LBB75_3
.LBB75_1:                               ;   in Loop: Header=BB75_3 Depth=1
	s_mov_b64 s[10:11], 0
.LBB75_2:                               ;   in Loop: Header=BB75_3 Depth=1
	s_and_b64 vcc, exec, s[8:9]
	s_cbranch_vccnz .LBB75_6
.LBB75_3:                               ; =>This Inner Loop Header: Depth=1
	s_mov_b64 s[0:1], s[6:7]
	s_lshl_b64 s[6:7], 1, s0
	s_and_b32 s2, s6, 0x2aaaaaa
	s_mov_b64 s[10:11], -1
	s_cmp_lg_u64 s[2:3], 0
	s_mov_b64 s[8:9], -1
                                        ; implicit-def: $sgpr6_sgpr7
                                        ; implicit-def: $sgpr13
	s_cbranch_scc1 .LBB75_2
; %bb.4:                                ;   in Loop: Header=BB75_3 Depth=1
	s_cmp_lg_u32 s0, 63
	s_mov_b32 s13, 63
                                        ; implicit-def: $sgpr6_sgpr7
	s_cbranch_scc0 .LBB75_1
; %bb.5:                                ;   in Loop: Header=BB75_3 Depth=1
	s_add_i32 s2, s0, 1
	s_lshl_b64 s[6:7], 1, s2
	s_or_b32 s13, s12, 1
	s_and_b32 s2, s6, 0x1555554
	s_cmp_lg_u64 s[2:3], 0
	s_cselect_b64 s[8:9], -1, 0
	s_add_u32 s6, s0, 2
	s_addc_u32 s7, s1, 0
	s_add_i32 s12, s12, 2
	s_branch .LBB75_1
.LBB75_6:
	s_and_b64 vcc, exec, s[10:11]
	s_cbranch_vccz .LBB75_8
; %bb.7:
	s_add_i32 s13, s0, -1
.LBB75_8:
	s_load_dwordx2 s[0:1], s[4:5], 0x0
	s_cmp_gt_u32 s13, 62
	s_cselect_b64 s[2:3], -1, 0
	v_cndmask_b32_e64 v1, 0, 1, s[2:3]
	s_waitcnt lgkmcnt(0)
	global_store_byte v0, v1, s[0:1]
	s_endpgm
	.section	.rodata,"a",@progbits
	.p2align	6, 0x0
	.amdhsa_kernel _Z21device_test_warp_maskILj26EEvP10TestStatus
		.amdhsa_group_segment_fixed_size 0
		.amdhsa_private_segment_fixed_size 0
		.amdhsa_kernarg_size 8
		.amdhsa_user_sgpr_count 6
		.amdhsa_user_sgpr_private_segment_buffer 1
		.amdhsa_user_sgpr_dispatch_ptr 0
		.amdhsa_user_sgpr_queue_ptr 0
		.amdhsa_user_sgpr_kernarg_segment_ptr 1
		.amdhsa_user_sgpr_dispatch_id 0
		.amdhsa_user_sgpr_flat_scratch_init 0
		.amdhsa_user_sgpr_kernarg_preload_length 0
		.amdhsa_user_sgpr_kernarg_preload_offset 0
		.amdhsa_user_sgpr_private_segment_size 0
		.amdhsa_uses_dynamic_stack 0
		.amdhsa_system_sgpr_private_segment_wavefront_offset 0
		.amdhsa_system_sgpr_workgroup_id_x 1
		.amdhsa_system_sgpr_workgroup_id_y 0
		.amdhsa_system_sgpr_workgroup_id_z 0
		.amdhsa_system_sgpr_workgroup_info 0
		.amdhsa_system_vgpr_workitem_id 0
		.amdhsa_next_free_vgpr 2
		.amdhsa_next_free_sgpr 14
		.amdhsa_accum_offset 4
		.amdhsa_reserve_vcc 1
		.amdhsa_reserve_flat_scratch 0
		.amdhsa_float_round_mode_32 0
		.amdhsa_float_round_mode_16_64 0
		.amdhsa_float_denorm_mode_32 3
		.amdhsa_float_denorm_mode_16_64 3
		.amdhsa_dx10_clamp 1
		.amdhsa_ieee_mode 1
		.amdhsa_fp16_overflow 0
		.amdhsa_tg_split 0
		.amdhsa_exception_fp_ieee_invalid_op 0
		.amdhsa_exception_fp_denorm_src 0
		.amdhsa_exception_fp_ieee_div_zero 0
		.amdhsa_exception_fp_ieee_overflow 0
		.amdhsa_exception_fp_ieee_underflow 0
		.amdhsa_exception_fp_ieee_inexact 0
		.amdhsa_exception_int_div_zero 0
	.end_amdhsa_kernel
	.section	.text._Z21device_test_warp_maskILj26EEvP10TestStatus,"axG",@progbits,_Z21device_test_warp_maskILj26EEvP10TestStatus,comdat
.Lfunc_end75:
	.size	_Z21device_test_warp_maskILj26EEvP10TestStatus, .Lfunc_end75-_Z21device_test_warp_maskILj26EEvP10TestStatus
                                        ; -- End function
	.section	.AMDGPU.csdata,"",@progbits
; Kernel info:
; codeLenInByte = 168
; NumSgprs: 18
; NumVgprs: 2
; NumAgprs: 0
; TotalNumVgprs: 2
; ScratchSize: 0
; MemoryBound: 0
; FloatMode: 240
; IeeeMode: 1
; LDSByteSize: 0 bytes/workgroup (compile time only)
; SGPRBlocks: 2
; VGPRBlocks: 0
; NumSGPRsForWavesPerEU: 18
; NumVGPRsForWavesPerEU: 2
; AccumOffset: 4
; Occupancy: 8
; WaveLimiterHint : 0
; COMPUTE_PGM_RSRC2:SCRATCH_EN: 0
; COMPUTE_PGM_RSRC2:USER_SGPR: 6
; COMPUTE_PGM_RSRC2:TRAP_HANDLER: 0
; COMPUTE_PGM_RSRC2:TGID_X_EN: 1
; COMPUTE_PGM_RSRC2:TGID_Y_EN: 0
; COMPUTE_PGM_RSRC2:TGID_Z_EN: 0
; COMPUTE_PGM_RSRC2:TIDIG_COMP_CNT: 0
; COMPUTE_PGM_RSRC3_GFX90A:ACCUM_OFFSET: 0
; COMPUTE_PGM_RSRC3_GFX90A:TG_SPLIT: 0
	.section	.text._Z21device_test_warp_maskILj27EEvP10TestStatus,"axG",@progbits,_Z21device_test_warp_maskILj27EEvP10TestStatus,comdat
	.protected	_Z21device_test_warp_maskILj27EEvP10TestStatus ; -- Begin function _Z21device_test_warp_maskILj27EEvP10TestStatus
	.globl	_Z21device_test_warp_maskILj27EEvP10TestStatus
	.p2align	8
	.type	_Z21device_test_warp_maskILj27EEvP10TestStatus,@function
_Z21device_test_warp_maskILj27EEvP10TestStatus: ; @_Z21device_test_warp_maskILj27EEvP10TestStatus
; %bb.0:
	s_mov_b32 s38, 27
	s_mov_b64 s[20:21], 35
	s_mov_b32 s11, 0
	s_branch .LBB76_3
.LBB76_1:                               ;   in Loop: Header=BB76_3 Depth=1
	s_add_i32 s39, s38, 4
	s_mov_b64 s[26:27], -1
                                        ; implicit-def: $sgpr38
                                        ; implicit-def: $sgpr20_sgpr21
                                        ; implicit-def: $sgpr12_sgpr13
                                        ; implicit-def: $sgpr24_sgpr25
.LBB76_2:                               ;   in Loop: Header=BB76_3 Depth=1
	s_and_b64 vcc, exec, s[36:37]
	s_cbranch_vccnz .LBB76_14
.LBB76_3:                               ; =>This Inner Loop Header: Depth=1
	s_mov_b64 s[0:1], s[20:21]
	s_add_u32 s33, s0, -7
	s_lshl_b64 s[2:3], 1, s33
	s_and_b32 s10, s2, 0x7fffffe
	s_mov_b64 s[14:15], -1
	s_cmp_lg_u64 s[10:11], 0
	s_mov_b64 s[30:31], 0
	s_mov_b64 s[34:35], 0
	;; [unrolled: 1-line block ×7, first 2 shown]
	s_mov_b64 s[36:37], -1
                                        ; implicit-def: $sgpr20_sgpr21
                                        ; implicit-def: $sgpr39
                                        ; implicit-def: $sgpr2_sgpr3
                                        ; implicit-def: $sgpr6_sgpr7
                                        ; implicit-def: $sgpr8_sgpr9
                                        ; implicit-def: $sgpr12_sgpr13
                                        ; implicit-def: $sgpr24_sgpr25
	s_cbranch_scc1 .LBB76_2
; %bb.4:                                ;   in Loop: Header=BB76_3 Depth=1
	s_add_u32 s2, s0, -6
	s_lshl_b64 s[6:7], 1, s2
	s_and_b32 s10, s6, 0x7fffffe
	s_mov_b64 s[16:17], -1
	s_mov_b64 s[14:15], 0
	s_cmp_eq_u64 s[10:11], 0
                                        ; implicit-def: $sgpr20_sgpr21
                                        ; implicit-def: $sgpr39
                                        ; implicit-def: $sgpr6_sgpr7
                                        ; implicit-def: $sgpr8_sgpr9
                                        ; implicit-def: $sgpr12_sgpr13
                                        ; implicit-def: $sgpr24_sgpr25
	s_cbranch_scc0 .LBB76_2
; %bb.5:                                ;   in Loop: Header=BB76_3 Depth=1
	s_add_u32 s6, s0, -5
	s_lshl_b64 s[8:9], 1, s6
	s_and_b32 s10, s8, 0x7fffffe
	s_mov_b64 s[18:19], -1
	s_mov_b64 s[16:17], 0
	s_cmp_eq_u64 s[10:11], 0
                                        ; implicit-def: $sgpr20_sgpr21
                                        ; implicit-def: $sgpr39
                                        ; implicit-def: $sgpr8_sgpr9
                                        ; implicit-def: $sgpr12_sgpr13
                                        ; implicit-def: $sgpr24_sgpr25
	s_cbranch_scc0 .LBB76_2
; %bb.6:                                ;   in Loop: Header=BB76_3 Depth=1
	s_add_u32 s8, s0, -4
	s_lshl_b64 s[12:13], 1, s8
	s_and_b32 s10, s12, 0x7fffffe
	s_mov_b64 s[22:23], -1
	s_mov_b64 s[18:19], 0
	s_cmp_eq_u64 s[10:11], 0
                                        ; implicit-def: $sgpr20_sgpr21
                                        ; implicit-def: $sgpr39
                                        ; implicit-def: $sgpr12_sgpr13
                                        ; implicit-def: $sgpr24_sgpr25
	s_cbranch_scc0 .LBB76_2
; %bb.7:                                ;   in Loop: Header=BB76_3 Depth=1
	s_cmpk_lg_i32 s0, 0x43
	s_mov_b64 s[22:23], 0
	s_cbranch_scc0 .LBB76_1
; %bb.8:                                ;   in Loop: Header=BB76_3 Depth=1
	s_add_u32 s12, s0, -3
	s_lshl_b64 s[20:21], 1, s12
	s_and_b32 s10, s20, 0x7fffffe
	s_mov_b64 s[28:29], -1
	s_cmp_eq_u64 s[10:11], 0
                                        ; implicit-def: $sgpr20_sgpr21
                                        ; implicit-def: $sgpr24_sgpr25
	s_cbranch_scc0 .LBB76_10
; %bb.9:                                ;   in Loop: Header=BB76_3 Depth=1
	s_add_u32 s24, s0, -2
	s_lshl_b64 s[20:21], 1, s24
	s_and_b32 s10, s20, 0x7fffffe
	s_mov_b64 s[34:35], -1
	s_mov_b64 s[28:29], 0
	s_cmp_eq_u64 s[10:11], 0
                                        ; implicit-def: $sgpr20_sgpr21
	s_cbranch_scc1 .LBB76_11
.LBB76_10:                              ;   in Loop: Header=BB76_3 Depth=1
                                        ; implicit-def: $sgpr39
	s_branch .LBB76_2
.LBB76_11:                              ;   in Loop: Header=BB76_3 Depth=1
	s_add_i32 s3, s0, -1
	s_lshl_b64 s[20:21], 1, s3
	s_and_b32 s10, s20, 0x7fffffe
	s_mov_b64 s[30:31], -1
	s_cmp_eq_u64 s[10:11], 0
                                        ; implicit-def: $sgpr20_sgpr21
	s_cbranch_scc1 .LBB76_13
; %bb.12:                               ;   in Loop: Header=BB76_3 Depth=1
	s_mov_b64 s[34:35], 0
                                        ; implicit-def: $sgpr39
	s_branch .LBB76_2
.LBB76_13:                              ;   in Loop: Header=BB76_3 Depth=1
	s_lshl_b64 s[20:21], 1, s0
	s_add_i32 s38, s38, 8
	s_and_b32 s10, s20, 0x7fffffe
	s_cmp_lg_u64 s[10:11], 0
	s_cselect_b64 s[36:37], -1, 0
	s_add_u32 s20, s0, 8
	s_addc_u32 s21, s1, 0
	s_mov_b64 s[30:31], 0
	s_mov_b64 s[34:35], 0
                                        ; implicit-def: $sgpr39
	s_branch .LBB76_2
.LBB76_14:
	s_mov_b64 s[10:11], -1
	s_and_b64 vcc, exec, s[14:15]
	s_cbranch_vccnz .LBB76_44
; %bb.15:
	s_xor_b64 s[10:11], s[16:17], -1
	s_andn2_b64 vcc, exec, s[10:11]
	s_cbranch_vccnz .LBB76_23
; %bb.16:
	s_xor_b64 s[10:11], s[18:19], -1
	s_andn2_b64 vcc, exec, s[10:11]
	;; [unrolled: 4-line block ×6, first 2 shown]
	s_cbranch_vccnz .LBB76_27
; %bb.21:
	s_xor_b64 s[10:11], s[30:31], -1
	s_and_b64 vcc, exec, s[10:11]
	s_cbranch_vccz .LBB76_28
; %bb.22:
	s_add_i32 s39, s20, -9
	s_mov_b64 s[10:11], 0
	s_branch .LBB76_29
.LBB76_23:
                                        ; implicit-def: $sgpr39
	s_branch .LBB76_42
.LBB76_24:
                                        ; implicit-def: $sgpr39
	s_branch .LBB76_40
.LBB76_25:
                                        ; implicit-def: $sgpr39
	s_branch .LBB76_38
.LBB76_26:
	s_mov_b64 s[10:11], -1
                                        ; implicit-def: $sgpr39
	s_branch .LBB76_35
.LBB76_27:
	s_mov_b64 s[10:11], -1
                                        ; implicit-def: $sgpr39
	s_branch .LBB76_32
.LBB76_28:
	s_mov_b64 s[10:11], -1
                                        ; implicit-def: $sgpr39
.LBB76_29:
	s_andn2_b64 vcc, exec, s[10:11]
	s_cbranch_vccnz .LBB76_31
; %bb.30:
	s_mov_b32 s39, s24
.LBB76_31:
	s_mov_b64 s[10:11], 0
.LBB76_32:
	s_andn2_b64 vcc, exec, s[10:11]
	s_cbranch_vccnz .LBB76_34
; %bb.33:
	s_mov_b32 s39, s12
.LBB76_34:
	s_mov_b64 s[10:11], 0
.LBB76_35:
	s_andn2_b64 vcc, exec, s[10:11]
	s_cbranch_vccnz .LBB76_37
; %bb.36:
	s_mov_b32 s39, s8
.LBB76_37:
	s_cbranch_execnz .LBB76_39
.LBB76_38:
	s_mov_b32 s39, s6
.LBB76_39:
	s_cbranch_execnz .LBB76_41
.LBB76_40:
	s_mov_b32 s39, s2
.LBB76_41:
	s_cbranch_execnz .LBB76_43
.LBB76_42:
	s_mov_b32 s39, s33
.LBB76_43:
	s_mov_b64 s[10:11], 0
.LBB76_44:
	s_andn2_b64 vcc, exec, s[10:11]
	s_cbranch_vccnz .LBB76_46
; %bb.45:
	s_add_i32 s39, s0, -8
.LBB76_46:
	s_load_dwordx2 s[0:1], s[4:5], 0x0
	s_cmp_gt_u32 s39, 62
	s_cselect_b64 s[2:3], -1, 0
	v_cndmask_b32_e64 v1, 0, 1, s[2:3]
	s_waitcnt lgkmcnt(0)
	global_store_byte v0, v1, s[0:1]
	s_endpgm
	.section	.rodata,"a",@progbits
	.p2align	6, 0x0
	.amdhsa_kernel _Z21device_test_warp_maskILj27EEvP10TestStatus
		.amdhsa_group_segment_fixed_size 0
		.amdhsa_private_segment_fixed_size 0
		.amdhsa_kernarg_size 8
		.amdhsa_user_sgpr_count 6
		.amdhsa_user_sgpr_private_segment_buffer 1
		.amdhsa_user_sgpr_dispatch_ptr 0
		.amdhsa_user_sgpr_queue_ptr 0
		.amdhsa_user_sgpr_kernarg_segment_ptr 1
		.amdhsa_user_sgpr_dispatch_id 0
		.amdhsa_user_sgpr_flat_scratch_init 0
		.amdhsa_user_sgpr_kernarg_preload_length 0
		.amdhsa_user_sgpr_kernarg_preload_offset 0
		.amdhsa_user_sgpr_private_segment_size 0
		.amdhsa_uses_dynamic_stack 0
		.amdhsa_system_sgpr_private_segment_wavefront_offset 0
		.amdhsa_system_sgpr_workgroup_id_x 1
		.amdhsa_system_sgpr_workgroup_id_y 0
		.amdhsa_system_sgpr_workgroup_id_z 0
		.amdhsa_system_sgpr_workgroup_info 0
		.amdhsa_system_vgpr_workitem_id 0
		.amdhsa_next_free_vgpr 2
		.amdhsa_next_free_sgpr 40
		.amdhsa_accum_offset 4
		.amdhsa_reserve_vcc 1
		.amdhsa_reserve_flat_scratch 0
		.amdhsa_float_round_mode_32 0
		.amdhsa_float_round_mode_16_64 0
		.amdhsa_float_denorm_mode_32 3
		.amdhsa_float_denorm_mode_16_64 3
		.amdhsa_dx10_clamp 1
		.amdhsa_ieee_mode 1
		.amdhsa_fp16_overflow 0
		.amdhsa_tg_split 0
		.amdhsa_exception_fp_ieee_invalid_op 0
		.amdhsa_exception_fp_denorm_src 0
		.amdhsa_exception_fp_ieee_div_zero 0
		.amdhsa_exception_fp_ieee_overflow 0
		.amdhsa_exception_fp_ieee_underflow 0
		.amdhsa_exception_fp_ieee_inexact 0
		.amdhsa_exception_int_div_zero 0
	.end_amdhsa_kernel
	.section	.text._Z21device_test_warp_maskILj27EEvP10TestStatus,"axG",@progbits,_Z21device_test_warp_maskILj27EEvP10TestStatus,comdat
.Lfunc_end76:
	.size	_Z21device_test_warp_maskILj27EEvP10TestStatus, .Lfunc_end76-_Z21device_test_warp_maskILj27EEvP10TestStatus
                                        ; -- End function
	.section	.AMDGPU.csdata,"",@progbits
; Kernel info:
; codeLenInByte = 612
; NumSgprs: 44
; NumVgprs: 2
; NumAgprs: 0
; TotalNumVgprs: 2
; ScratchSize: 0
; MemoryBound: 0
; FloatMode: 240
; IeeeMode: 1
; LDSByteSize: 0 bytes/workgroup (compile time only)
; SGPRBlocks: 5
; VGPRBlocks: 0
; NumSGPRsForWavesPerEU: 44
; NumVGPRsForWavesPerEU: 2
; AccumOffset: 4
; Occupancy: 8
; WaveLimiterHint : 0
; COMPUTE_PGM_RSRC2:SCRATCH_EN: 0
; COMPUTE_PGM_RSRC2:USER_SGPR: 6
; COMPUTE_PGM_RSRC2:TRAP_HANDLER: 0
; COMPUTE_PGM_RSRC2:TGID_X_EN: 1
; COMPUTE_PGM_RSRC2:TGID_Y_EN: 0
; COMPUTE_PGM_RSRC2:TGID_Z_EN: 0
; COMPUTE_PGM_RSRC2:TIDIG_COMP_CNT: 0
; COMPUTE_PGM_RSRC3_GFX90A:ACCUM_OFFSET: 0
; COMPUTE_PGM_RSRC3_GFX90A:TG_SPLIT: 0
	.section	.text._Z21device_test_warp_maskILj28EEvP10TestStatus,"axG",@progbits,_Z21device_test_warp_maskILj28EEvP10TestStatus,comdat
	.protected	_Z21device_test_warp_maskILj28EEvP10TestStatus ; -- Begin function _Z21device_test_warp_maskILj28EEvP10TestStatus
	.globl	_Z21device_test_warp_maskILj28EEvP10TestStatus
	.p2align	8
	.type	_Z21device_test_warp_maskILj28EEvP10TestStatus,@function
_Z21device_test_warp_maskILj28EEvP10TestStatus: ; @_Z21device_test_warp_maskILj28EEvP10TestStatus
; %bb.0:
	s_mov_b32 s56, 28
	s_mov_b64 s[50:51], 29
	s_mov_b32 s17, 0
	s_branch .LBB77_4
.LBB77_1:                               ;   in Loop: Header=BB77_4 Depth=1
	s_add_i32 s3, s0, 11
	s_lshl_b64 s[40:41], 1, s3
	s_and_b32 s16, s40, 0x1111110
	s_cmp_lg_u64 s[16:17], 0
	s_cselect_b64 s[54:55], -1, 0
	s_add_u32 s50, s0, 12
	s_addc_u32 s51, s1, 0
	s_add_i32 s56, s56, 12
	s_mov_b64 s[40:41], 0
                                        ; implicit-def: $sgpr33
.LBB77_2:                               ;   in Loop: Header=BB77_4 Depth=1
	s_mov_b64 s[46:47], 0
.LBB77_3:                               ;   in Loop: Header=BB77_4 Depth=1
	s_and_b64 vcc, exec, s[54:55]
	s_cbranch_vccnz .LBB77_17
.LBB77_4:                               ; =>This Inner Loop Header: Depth=1
	s_mov_b64 s[0:1], s[50:51]
	s_lshl_b64 s[2:3], 1, s0
	s_and_b32 s16, s2, 0x2222222
	s_mov_b64 s[18:19], -1
	s_cmp_lg_u64 s[16:17], 0
	s_mov_b64 s[40:41], 0
	s_mov_b64 s[46:47], 0
	;; [unrolled: 1-line block ×11, first 2 shown]
	s_mov_b64 s[54:55], -1
                                        ; implicit-def: $sgpr50_sgpr51
                                        ; implicit-def: $sgpr33
                                        ; implicit-def: $sgpr2_sgpr3
                                        ; implicit-def: $sgpr6_sgpr7
                                        ; implicit-def: $sgpr8_sgpr9
                                        ; implicit-def: $sgpr10_sgpr11
                                        ; implicit-def: $sgpr12_sgpr13
                                        ; implicit-def: $sgpr14_sgpr15
                                        ; implicit-def: $sgpr20_sgpr21
                                        ; implicit-def: $sgpr34_sgpr35
                                        ; implicit-def: $sgpr48_sgpr49
                                        ; implicit-def: $sgpr52_sgpr53
	s_cbranch_scc1 .LBB77_3
; %bb.5:                                ;   in Loop: Header=BB77_4 Depth=1
	s_add_u32 s2, s0, 1
	s_lshl_b64 s[6:7], 1, s2
	s_and_b32 s16, s6, 0x4444444
	s_mov_b64 s[22:23], -1
	s_mov_b64 s[18:19], 0
	s_cmp_eq_u64 s[16:17], 0
                                        ; implicit-def: $sgpr50_sgpr51
                                        ; implicit-def: $sgpr33
                                        ; implicit-def: $sgpr6_sgpr7
                                        ; implicit-def: $sgpr8_sgpr9
                                        ; implicit-def: $sgpr10_sgpr11
                                        ; implicit-def: $sgpr12_sgpr13
                                        ; implicit-def: $sgpr14_sgpr15
                                        ; implicit-def: $sgpr20_sgpr21
                                        ; implicit-def: $sgpr34_sgpr35
                                        ; implicit-def: $sgpr48_sgpr49
                                        ; implicit-def: $sgpr52_sgpr53
	s_cbranch_scc0 .LBB77_3
; %bb.6:                                ;   in Loop: Header=BB77_4 Depth=1
	s_add_u32 s6, s0, 2
	s_lshl_b64 s[8:9], 1, s6
	s_and_b32 s16, s8, 0x8888888
	s_mov_b64 s[24:25], -1
	s_mov_b64 s[22:23], 0
	s_cmp_eq_u64 s[16:17], 0
                                        ; implicit-def: $sgpr50_sgpr51
                                        ; implicit-def: $sgpr33
                                        ; implicit-def: $sgpr8_sgpr9
                                        ; implicit-def: $sgpr10_sgpr11
                                        ; implicit-def: $sgpr12_sgpr13
                                        ; implicit-def: $sgpr14_sgpr15
                                        ; implicit-def: $sgpr20_sgpr21
                                        ; implicit-def: $sgpr34_sgpr35
                                        ; implicit-def: $sgpr48_sgpr49
                                        ; implicit-def: $sgpr52_sgpr53
	s_cbranch_scc0 .LBB77_3
; %bb.7:                                ;   in Loop: Header=BB77_4 Depth=1
	s_add_u32 s8, s0, 3
	s_lshl_b64 s[10:11], 1, s8
	s_and_b32 s16, s10, 0x1111110
	s_mov_b64 s[26:27], -1
	s_mov_b64 s[24:25], 0
	s_cmp_eq_u64 s[16:17], 0
                                        ; implicit-def: $sgpr50_sgpr51
                                        ; implicit-def: $sgpr33
                                        ; implicit-def: $sgpr10_sgpr11
                                        ; implicit-def: $sgpr12_sgpr13
                                        ; implicit-def: $sgpr14_sgpr15
                                        ; implicit-def: $sgpr20_sgpr21
                                        ; implicit-def: $sgpr34_sgpr35
                                        ; implicit-def: $sgpr48_sgpr49
                                        ; implicit-def: $sgpr52_sgpr53
	s_cbranch_scc0 .LBB77_3
; %bb.8:                                ;   in Loop: Header=BB77_4 Depth=1
	s_add_u32 s10, s0, 4
	s_lshl_b64 s[12:13], 1, s10
	s_and_b32 s16, s12, 0x2222222
	s_mov_b64 s[28:29], -1
	s_mov_b64 s[26:27], 0
	s_cmp_eq_u64 s[16:17], 0
                                        ; implicit-def: $sgpr50_sgpr51
                                        ; implicit-def: $sgpr33
                                        ; implicit-def: $sgpr12_sgpr13
                                        ; implicit-def: $sgpr14_sgpr15
                                        ; implicit-def: $sgpr20_sgpr21
                                        ; implicit-def: $sgpr34_sgpr35
                                        ; implicit-def: $sgpr48_sgpr49
                                        ; implicit-def: $sgpr52_sgpr53
	s_cbranch_scc0 .LBB77_3
; %bb.9:                                ;   in Loop: Header=BB77_4 Depth=1
	s_add_u32 s12, s0, 5
	s_lshl_b64 s[14:15], 1, s12
	s_and_b32 s16, s14, 0x4444444
	s_mov_b64 s[30:31], -1
	s_mov_b64 s[28:29], 0
	s_cmp_eq_u64 s[16:17], 0
                                        ; implicit-def: $sgpr50_sgpr51
                                        ; implicit-def: $sgpr33
                                        ; implicit-def: $sgpr14_sgpr15
                                        ; implicit-def: $sgpr20_sgpr21
                                        ; implicit-def: $sgpr34_sgpr35
                                        ; implicit-def: $sgpr48_sgpr49
                                        ; implicit-def: $sgpr52_sgpr53
	s_cbranch_scc0 .LBB77_3
; %bb.10:                               ;   in Loop: Header=BB77_4 Depth=1
	s_add_u32 s14, s0, 6
	s_lshl_b64 s[20:21], 1, s14
	s_and_b32 s16, s20, 0x8888888
	s_mov_b64 s[36:37], -1
	s_mov_b64 s[30:31], 0
	s_cmp_eq_u64 s[16:17], 0
                                        ; implicit-def: $sgpr50_sgpr51
                                        ; implicit-def: $sgpr33
                                        ; implicit-def: $sgpr20_sgpr21
                                        ; implicit-def: $sgpr34_sgpr35
                                        ; implicit-def: $sgpr48_sgpr49
                                        ; implicit-def: $sgpr52_sgpr53
	s_cbranch_scc0 .LBB77_3
; %bb.11:                               ;   in Loop: Header=BB77_4 Depth=1
	s_add_u32 s20, s0, 7
	s_lshl_b64 s[34:35], 1, s20
	s_and_b32 s16, s34, 0x1111110
	s_mov_b64 s[38:39], -1
	s_mov_b64 s[36:37], 0
	s_cmp_eq_u64 s[16:17], 0
                                        ; implicit-def: $sgpr50_sgpr51
                                        ; implicit-def: $sgpr33
                                        ; implicit-def: $sgpr34_sgpr35
                                        ; implicit-def: $sgpr48_sgpr49
                                        ; implicit-def: $sgpr52_sgpr53
	s_cbranch_scc0 .LBB77_3
; %bb.12:                               ;   in Loop: Header=BB77_4 Depth=1
	s_add_u32 s34, s0, 8
	s_lshl_b64 s[38:39], 1, s34
	s_and_b32 s16, s38, 0x2222222
	s_mov_b64 s[42:43], -1
	s_mov_b64 s[38:39], 0
	s_cmp_eq_u64 s[16:17], 0
                                        ; implicit-def: $sgpr50_sgpr51
                                        ; implicit-def: $sgpr33
                                        ; implicit-def: $sgpr48_sgpr49
                                        ; implicit-def: $sgpr52_sgpr53
	s_cbranch_scc0 .LBB77_3
; %bb.13:                               ;   in Loop: Header=BB77_4 Depth=1
	s_add_u32 s48, s0, 9
	s_lshl_b64 s[40:41], 1, s48
	s_and_b32 s16, s40, 0x4444444
	s_mov_b64 s[44:45], -1
	s_mov_b64 s[42:43], 0
	s_cmp_eq_u64 s[16:17], 0
	s_mov_b64 s[40:41], 0
                                        ; implicit-def: $sgpr50_sgpr51
                                        ; implicit-def: $sgpr33
                                        ; implicit-def: $sgpr52_sgpr53
	s_cbranch_scc0 .LBB77_3
; %bb.14:                               ;   in Loop: Header=BB77_4 Depth=1
	s_add_u32 s52, s0, 10
	s_lshl_b64 s[40:41], 1, s52
	s_and_b32 s16, s40, 0x8888888
	s_mov_b64 s[46:47], -1
	s_mov_b64 s[44:45], 0
	s_cmp_eq_u64 s[16:17], 0
	s_mov_b64 s[40:41], 0
                                        ; implicit-def: $sgpr50_sgpr51
                                        ; implicit-def: $sgpr33
	s_cbranch_scc0 .LBB77_3
; %bb.15:                               ;   in Loop: Header=BB77_4 Depth=1
	s_cmp_lg_u32 s0, 53
	s_cbranch_scc1 .LBB77_1
; %bb.16:                               ;   in Loop: Header=BB77_4 Depth=1
	s_add_i32 s33, s56, 11
	s_mov_b64 s[40:41], -1
                                        ; implicit-def: $sgpr56
                                        ; implicit-def: $sgpr50_sgpr51
	s_branch .LBB77_2
.LBB77_17:
	s_mov_b64 s[16:17], -1
	s_and_b64 vcc, exec, s[18:19]
	s_cbranch_vccnz .LBB77_68
; %bb.18:
	s_xor_b64 s[16:17], s[22:23], -1
	s_andn2_b64 vcc, exec, s[16:17]
	s_cbranch_vccnz .LBB77_31
; %bb.19:
	s_xor_b64 s[16:17], s[24:25], -1
	s_andn2_b64 vcc, exec, s[16:17]
	;; [unrolled: 4-line block ×10, first 2 shown]
	s_cbranch_vccnz .LBB77_40
; %bb.28:
	s_xor_b64 s[16:17], s[40:41], -1
	s_and_b64 vcc, exec, s[16:17]
	s_cbranch_vccz .LBB77_30
; %bb.29:
	s_mov_b32 s33, s52
.LBB77_30:
	s_mov_b64 s[16:17], 0
	s_branch .LBB77_41
.LBB77_31:
                                        ; implicit-def: $sgpr33
	s_branch .LBB77_66
.LBB77_32:
                                        ; implicit-def: $sgpr33
	s_branch .LBB77_64
.LBB77_33:
                                        ; implicit-def: $sgpr33
	s_branch .LBB77_62
.LBB77_34:
	s_mov_b64 s[10:11], -1
                                        ; implicit-def: $sgpr33
	s_branch .LBB77_59
.LBB77_35:
	s_mov_b64 s[12:13], -1
                                        ; implicit-def: $sgpr33
	s_branch .LBB77_56
.LBB77_36:
	s_mov_b64 s[14:15], -1
                                        ; implicit-def: $sgpr33
	s_branch .LBB77_53
.LBB77_37:
	s_mov_b64 s[16:17], -1
                                        ; implicit-def: $sgpr33
	s_branch .LBB77_50
.LBB77_38:
	s_mov_b64 s[16:17], -1
                                        ; implicit-def: $sgpr33
	s_branch .LBB77_47
.LBB77_39:
	s_mov_b64 s[16:17], -1
                                        ; implicit-def: $sgpr33
	s_branch .LBB77_44
.LBB77_40:
	s_mov_b64 s[16:17], -1
                                        ; implicit-def: $sgpr33
.LBB77_41:
	s_andn2_b64 vcc, exec, s[16:17]
	s_cbranch_vccnz .LBB77_43
; %bb.42:
	s_mov_b32 s33, s48
.LBB77_43:
	s_mov_b64 s[16:17], 0
.LBB77_44:
	s_andn2_b64 vcc, exec, s[16:17]
	s_cbranch_vccnz .LBB77_46
; %bb.45:
	s_mov_b32 s33, s34
.LBB77_46:
	s_mov_b64 s[16:17], 0
.LBB77_47:
	s_andn2_b64 vcc, exec, s[16:17]
	s_cbranch_vccnz .LBB77_49
; %bb.48:
	s_mov_b32 s33, s20
.LBB77_49:
	s_mov_b64 s[16:17], 0
.LBB77_50:
	s_andn2_b64 vcc, exec, s[16:17]
	s_cbranch_vccnz .LBB77_52
; %bb.51:
	s_mov_b32 s33, s14
.LBB77_52:
	s_mov_b64 s[14:15], 0
.LBB77_53:
	s_andn2_b64 vcc, exec, s[14:15]
	s_cbranch_vccnz .LBB77_55
; %bb.54:
	s_mov_b32 s33, s12
.LBB77_55:
	s_mov_b64 s[12:13], 0
.LBB77_56:
	s_andn2_b64 vcc, exec, s[12:13]
	s_cbranch_vccnz .LBB77_58
; %bb.57:
	s_mov_b32 s33, s10
.LBB77_58:
	s_mov_b64 s[10:11], 0
.LBB77_59:
	s_andn2_b64 vcc, exec, s[10:11]
	s_cbranch_vccnz .LBB77_61
; %bb.60:
	s_mov_b32 s33, s8
.LBB77_61:
	s_cbranch_execnz .LBB77_63
.LBB77_62:
	s_mov_b32 s33, s6
.LBB77_63:
	s_cbranch_execnz .LBB77_65
.LBB77_64:
	s_mov_b32 s33, s2
.LBB77_65:
	s_cbranch_execnz .LBB77_67
.LBB77_66:
	s_mov_b32 s33, s0
.LBB77_67:
	s_mov_b64 s[16:17], 0
.LBB77_68:
	s_andn2_b64 vcc, exec, s[16:17]
	s_cbranch_vccnz .LBB77_70
; %bb.69:
	s_add_i32 s33, s0, -1
.LBB77_70:
	s_load_dwordx2 s[0:1], s[4:5], 0x0
	s_cmp_gt_u32 s33, 62
	s_cselect_b64 s[2:3], -1, 0
	v_cndmask_b32_e64 v1, 0, 1, s[2:3]
	s_waitcnt lgkmcnt(0)
	global_store_byte v0, v1, s[0:1]
	s_endpgm
	.section	.rodata,"a",@progbits
	.p2align	6, 0x0
	.amdhsa_kernel _Z21device_test_warp_maskILj28EEvP10TestStatus
		.amdhsa_group_segment_fixed_size 0
		.amdhsa_private_segment_fixed_size 0
		.amdhsa_kernarg_size 8
		.amdhsa_user_sgpr_count 6
		.amdhsa_user_sgpr_private_segment_buffer 1
		.amdhsa_user_sgpr_dispatch_ptr 0
		.amdhsa_user_sgpr_queue_ptr 0
		.amdhsa_user_sgpr_kernarg_segment_ptr 1
		.amdhsa_user_sgpr_dispatch_id 0
		.amdhsa_user_sgpr_flat_scratch_init 0
		.amdhsa_user_sgpr_kernarg_preload_length 0
		.amdhsa_user_sgpr_kernarg_preload_offset 0
		.amdhsa_user_sgpr_private_segment_size 0
		.amdhsa_uses_dynamic_stack 0
		.amdhsa_system_sgpr_private_segment_wavefront_offset 0
		.amdhsa_system_sgpr_workgroup_id_x 1
		.amdhsa_system_sgpr_workgroup_id_y 0
		.amdhsa_system_sgpr_workgroup_id_z 0
		.amdhsa_system_sgpr_workgroup_info 0
		.amdhsa_system_vgpr_workitem_id 0
		.amdhsa_next_free_vgpr 2
		.amdhsa_next_free_sgpr 57
		.amdhsa_accum_offset 4
		.amdhsa_reserve_vcc 1
		.amdhsa_reserve_flat_scratch 0
		.amdhsa_float_round_mode_32 0
		.amdhsa_float_round_mode_16_64 0
		.amdhsa_float_denorm_mode_32 3
		.amdhsa_float_denorm_mode_16_64 3
		.amdhsa_dx10_clamp 1
		.amdhsa_ieee_mode 1
		.amdhsa_fp16_overflow 0
		.amdhsa_tg_split 0
		.amdhsa_exception_fp_ieee_invalid_op 0
		.amdhsa_exception_fp_denorm_src 0
		.amdhsa_exception_fp_ieee_div_zero 0
		.amdhsa_exception_fp_ieee_overflow 0
		.amdhsa_exception_fp_ieee_underflow 0
		.amdhsa_exception_fp_ieee_inexact 0
		.amdhsa_exception_int_div_zero 0
	.end_amdhsa_kernel
	.section	.text._Z21device_test_warp_maskILj28EEvP10TestStatus,"axG",@progbits,_Z21device_test_warp_maskILj28EEvP10TestStatus,comdat
.Lfunc_end77:
	.size	_Z21device_test_warp_maskILj28EEvP10TestStatus, .Lfunc_end77-_Z21device_test_warp_maskILj28EEvP10TestStatus
                                        ; -- End function
	.section	.AMDGPU.csdata,"",@progbits
; Kernel info:
; codeLenInByte = 900
; NumSgprs: 61
; NumVgprs: 2
; NumAgprs: 0
; TotalNumVgprs: 2
; ScratchSize: 0
; MemoryBound: 0
; FloatMode: 240
; IeeeMode: 1
; LDSByteSize: 0 bytes/workgroup (compile time only)
; SGPRBlocks: 7
; VGPRBlocks: 0
; NumSGPRsForWavesPerEU: 61
; NumVGPRsForWavesPerEU: 2
; AccumOffset: 4
; Occupancy: 8
; WaveLimiterHint : 0
; COMPUTE_PGM_RSRC2:SCRATCH_EN: 0
; COMPUTE_PGM_RSRC2:USER_SGPR: 6
; COMPUTE_PGM_RSRC2:TRAP_HANDLER: 0
; COMPUTE_PGM_RSRC2:TGID_X_EN: 1
; COMPUTE_PGM_RSRC2:TGID_Y_EN: 0
; COMPUTE_PGM_RSRC2:TGID_Z_EN: 0
; COMPUTE_PGM_RSRC2:TIDIG_COMP_CNT: 0
; COMPUTE_PGM_RSRC3_GFX90A:ACCUM_OFFSET: 0
; COMPUTE_PGM_RSRC3_GFX90A:TG_SPLIT: 0
	.section	.text._Z21device_test_warp_maskILj29EEvP10TestStatus,"axG",@progbits,_Z21device_test_warp_maskILj29EEvP10TestStatus,comdat
	.protected	_Z21device_test_warp_maskILj29EEvP10TestStatus ; -- Begin function _Z21device_test_warp_maskILj29EEvP10TestStatus
	.globl	_Z21device_test_warp_maskILj29EEvP10TestStatus
	.p2align	8
	.type	_Z21device_test_warp_maskILj29EEvP10TestStatus,@function
_Z21device_test_warp_maskILj29EEvP10TestStatus: ; @_Z21device_test_warp_maskILj29EEvP10TestStatus
; %bb.0:
	s_mov_b32 s37, 29
	s_mov_b64 s[28:29], 36
	s_mov_b32 s11, 0
	s_branch .LBB78_3
.LBB78_1:                               ;   in Loop: Header=BB78_3 Depth=1
	s_mov_b64 s[30:31], 0
.LBB78_2:                               ;   in Loop: Header=BB78_3 Depth=1
	s_and_b64 vcc, exec, s[34:35]
	s_cbranch_vccnz .LBB78_11
.LBB78_3:                               ; =>This Inner Loop Header: Depth=1
	s_mov_b64 s[0:1], s[28:29]
	s_add_u32 s33, s0, -6
	s_lshl_b64 s[2:3], 1, s33
	s_and_b32 s10, s2, 0x1ffffffe
	s_cmp_lg_u64 s[10:11], 0
	s_mov_b64 s[24:25], 0
	s_mov_b64 s[30:31], 0
	;; [unrolled: 1-line block ×6, first 2 shown]
	s_mov_b64 s[16:17], -1
	s_mov_b64 s[34:35], -1
                                        ; implicit-def: $sgpr28_sgpr29
                                        ; implicit-def: $sgpr36
                                        ; implicit-def: $sgpr2_sgpr3
                                        ; implicit-def: $sgpr6_sgpr7
                                        ; implicit-def: $sgpr8_sgpr9
                                        ; implicit-def: $sgpr12_sgpr13
                                        ; implicit-def: $sgpr26_sgpr27
	s_cbranch_scc1 .LBB78_2
; %bb.4:                                ;   in Loop: Header=BB78_3 Depth=1
	s_add_u32 s2, s0, -5
	s_lshl_b64 s[6:7], 1, s2
	s_and_b32 s10, s6, 0x1ffffffe
	s_mov_b64 s[14:15], -1
	s_mov_b64 s[16:17], 0
	s_cmp_eq_u64 s[10:11], 0
                                        ; implicit-def: $sgpr28_sgpr29
                                        ; implicit-def: $sgpr36
                                        ; implicit-def: $sgpr6_sgpr7
                                        ; implicit-def: $sgpr8_sgpr9
                                        ; implicit-def: $sgpr12_sgpr13
                                        ; implicit-def: $sgpr26_sgpr27
	s_cbranch_scc0 .LBB78_2
; %bb.5:                                ;   in Loop: Header=BB78_3 Depth=1
	s_add_u32 s6, s0, -4
	s_lshl_b64 s[8:9], 1, s6
	s_and_b32 s10, s8, 0x1ffffffe
	s_mov_b64 s[18:19], -1
	s_mov_b64 s[14:15], 0
	s_cmp_eq_u64 s[10:11], 0
                                        ; implicit-def: $sgpr28_sgpr29
                                        ; implicit-def: $sgpr36
                                        ; implicit-def: $sgpr8_sgpr9
                                        ; implicit-def: $sgpr12_sgpr13
                                        ; implicit-def: $sgpr26_sgpr27
	s_cbranch_scc0 .LBB78_2
; %bb.6:                                ;   in Loop: Header=BB78_3 Depth=1
	s_add_u32 s8, s0, -3
	s_lshl_b64 s[12:13], 1, s8
	s_and_b32 s10, s12, 0x1ffffffe
	s_mov_b64 s[20:21], -1
	s_mov_b64 s[18:19], 0
	s_cmp_eq_u64 s[10:11], 0
                                        ; implicit-def: $sgpr28_sgpr29
                                        ; implicit-def: $sgpr36
                                        ; implicit-def: $sgpr12_sgpr13
                                        ; implicit-def: $sgpr26_sgpr27
	s_cbranch_scc0 .LBB78_2
; %bb.7:                                ;   in Loop: Header=BB78_3 Depth=1
	s_add_u32 s12, s0, -2
	s_lshl_b64 s[20:21], 1, s12
	s_and_b32 s10, s20, 0x1ffffffe
	s_mov_b64 s[22:23], -1
	s_mov_b64 s[20:21], 0
	s_cmp_eq_u64 s[10:11], 0
                                        ; implicit-def: $sgpr28_sgpr29
                                        ; implicit-def: $sgpr36
                                        ; implicit-def: $sgpr26_sgpr27
	s_cbranch_scc0 .LBB78_2
; %bb.8:                                ;   in Loop: Header=BB78_3 Depth=1
	s_add_u32 s26, s0, -1
	s_lshl_b64 s[22:23], 1, s26
	s_and_b32 s10, s22, 0x1ffffffe
	s_mov_b64 s[30:31], -1
	s_mov_b64 s[22:23], 0
	s_cmp_eq_u64 s[10:11], 0
                                        ; implicit-def: $sgpr28_sgpr29
                                        ; implicit-def: $sgpr36
	s_cbranch_scc0 .LBB78_2
; %bb.9:                                ;   in Loop: Header=BB78_3 Depth=1
	s_mov_b64 s[24:25], -1
	s_cmp_lg_u32 s0, 64
                                        ; implicit-def: $sgpr28_sgpr29
                                        ; implicit-def: $sgpr36
	s_cbranch_scc0 .LBB78_1
; %bb.10:                               ;   in Loop: Header=BB78_3 Depth=1
	s_lshl_b64 s[24:25], 1, s0
	s_add_i32 s36, s37, 6
	s_and_b32 s10, s24, 0x1ffffffe
	s_cmp_lg_u64 s[10:11], 0
	s_cselect_b64 s[34:35], -1, 0
	s_add_u32 s28, s0, 7
	s_addc_u32 s29, s1, 0
	s_add_i32 s37, s37, 7
	s_mov_b64 s[24:25], 0
	s_branch .LBB78_1
.LBB78_11:
	s_mov_b64 s[10:11], -1
	s_and_b64 vcc, exec, s[16:17]
	s_cbranch_vccnz .LBB78_37
; %bb.12:
	s_xor_b64 s[10:11], s[14:15], -1
	s_andn2_b64 vcc, exec, s[10:11]
	s_cbranch_vccnz .LBB78_20
; %bb.13:
	s_xor_b64 s[10:11], s[18:19], -1
	s_andn2_b64 vcc, exec, s[10:11]
	;; [unrolled: 4-line block ×5, first 2 shown]
	s_cbranch_vccnz .LBB78_24
; %bb.17:
	s_and_b64 vcc, exec, s[24:25]
	s_cbranch_vccz .LBB78_19
; %bb.18:
	s_mov_b32 s36, s26
.LBB78_19:
	s_mov_b64 s[10:11], 0
	s_branch .LBB78_25
.LBB78_20:
                                        ; implicit-def: $sgpr36
	s_branch .LBB78_35
.LBB78_21:
                                        ; implicit-def: $sgpr36
	s_branch .LBB78_33
.LBB78_22:
                                        ; implicit-def: $sgpr36
	s_branch .LBB78_31
.LBB78_23:
	s_mov_b64 s[10:11], -1
                                        ; implicit-def: $sgpr36
	s_branch .LBB78_28
.LBB78_24:
	s_mov_b64 s[10:11], -1
                                        ; implicit-def: $sgpr36
.LBB78_25:
	s_andn2_b64 vcc, exec, s[10:11]
	s_cbranch_vccnz .LBB78_27
; %bb.26:
	s_mov_b32 s36, s12
.LBB78_27:
	s_mov_b64 s[10:11], 0
.LBB78_28:
	s_andn2_b64 vcc, exec, s[10:11]
	s_cbranch_vccnz .LBB78_30
; %bb.29:
	s_mov_b32 s36, s8
.LBB78_30:
	s_cbranch_execnz .LBB78_32
.LBB78_31:
	s_mov_b32 s36, s6
.LBB78_32:
	s_cbranch_execnz .LBB78_34
.LBB78_33:
	s_mov_b32 s36, s2
.LBB78_34:
	s_cbranch_execnz .LBB78_36
.LBB78_35:
	s_mov_b32 s36, s33
.LBB78_36:
	s_mov_b64 s[10:11], 0
.LBB78_37:
	s_andn2_b64 vcc, exec, s[10:11]
	s_cbranch_vccnz .LBB78_39
; %bb.38:
	s_add_i32 s36, s0, -7
.LBB78_39:
	s_load_dwordx2 s[0:1], s[4:5], 0x0
	s_cmp_gt_u32 s36, 62
	s_cselect_b64 s[2:3], -1, 0
	v_cndmask_b32_e64 v1, 0, 1, s[2:3]
	s_waitcnt lgkmcnt(0)
	global_store_byte v0, v1, s[0:1]
	s_endpgm
	.section	.rodata,"a",@progbits
	.p2align	6, 0x0
	.amdhsa_kernel _Z21device_test_warp_maskILj29EEvP10TestStatus
		.amdhsa_group_segment_fixed_size 0
		.amdhsa_private_segment_fixed_size 0
		.amdhsa_kernarg_size 8
		.amdhsa_user_sgpr_count 6
		.amdhsa_user_sgpr_private_segment_buffer 1
		.amdhsa_user_sgpr_dispatch_ptr 0
		.amdhsa_user_sgpr_queue_ptr 0
		.amdhsa_user_sgpr_kernarg_segment_ptr 1
		.amdhsa_user_sgpr_dispatch_id 0
		.amdhsa_user_sgpr_flat_scratch_init 0
		.amdhsa_user_sgpr_kernarg_preload_length 0
		.amdhsa_user_sgpr_kernarg_preload_offset 0
		.amdhsa_user_sgpr_private_segment_size 0
		.amdhsa_uses_dynamic_stack 0
		.amdhsa_system_sgpr_private_segment_wavefront_offset 0
		.amdhsa_system_sgpr_workgroup_id_x 1
		.amdhsa_system_sgpr_workgroup_id_y 0
		.amdhsa_system_sgpr_workgroup_id_z 0
		.amdhsa_system_sgpr_workgroup_info 0
		.amdhsa_system_vgpr_workitem_id 0
		.amdhsa_next_free_vgpr 2
		.amdhsa_next_free_sgpr 38
		.amdhsa_accum_offset 4
		.amdhsa_reserve_vcc 1
		.amdhsa_reserve_flat_scratch 0
		.amdhsa_float_round_mode_32 0
		.amdhsa_float_round_mode_16_64 0
		.amdhsa_float_denorm_mode_32 3
		.amdhsa_float_denorm_mode_16_64 3
		.amdhsa_dx10_clamp 1
		.amdhsa_ieee_mode 1
		.amdhsa_fp16_overflow 0
		.amdhsa_tg_split 0
		.amdhsa_exception_fp_ieee_invalid_op 0
		.amdhsa_exception_fp_denorm_src 0
		.amdhsa_exception_fp_ieee_div_zero 0
		.amdhsa_exception_fp_ieee_overflow 0
		.amdhsa_exception_fp_ieee_underflow 0
		.amdhsa_exception_fp_ieee_inexact 0
		.amdhsa_exception_int_div_zero 0
	.end_amdhsa_kernel
	.section	.text._Z21device_test_warp_maskILj29EEvP10TestStatus,"axG",@progbits,_Z21device_test_warp_maskILj29EEvP10TestStatus,comdat
.Lfunc_end78:
	.size	_Z21device_test_warp_maskILj29EEvP10TestStatus, .Lfunc_end78-_Z21device_test_warp_maskILj29EEvP10TestStatus
                                        ; -- End function
	.section	.AMDGPU.csdata,"",@progbits
; Kernel info:
; codeLenInByte = 528
; NumSgprs: 42
; NumVgprs: 2
; NumAgprs: 0
; TotalNumVgprs: 2
; ScratchSize: 0
; MemoryBound: 0
; FloatMode: 240
; IeeeMode: 1
; LDSByteSize: 0 bytes/workgroup (compile time only)
; SGPRBlocks: 5
; VGPRBlocks: 0
; NumSGPRsForWavesPerEU: 42
; NumVGPRsForWavesPerEU: 2
; AccumOffset: 4
; Occupancy: 8
; WaveLimiterHint : 0
; COMPUTE_PGM_RSRC2:SCRATCH_EN: 0
; COMPUTE_PGM_RSRC2:USER_SGPR: 6
; COMPUTE_PGM_RSRC2:TRAP_HANDLER: 0
; COMPUTE_PGM_RSRC2:TGID_X_EN: 1
; COMPUTE_PGM_RSRC2:TGID_Y_EN: 0
; COMPUTE_PGM_RSRC2:TGID_Z_EN: 0
; COMPUTE_PGM_RSRC2:TIDIG_COMP_CNT: 0
; COMPUTE_PGM_RSRC3_GFX90A:ACCUM_OFFSET: 0
; COMPUTE_PGM_RSRC3_GFX90A:TG_SPLIT: 0
	.section	.text._Z21device_test_warp_maskILj30EEvP10TestStatus,"axG",@progbits,_Z21device_test_warp_maskILj30EEvP10TestStatus,comdat
	.protected	_Z21device_test_warp_maskILj30EEvP10TestStatus ; -- Begin function _Z21device_test_warp_maskILj30EEvP10TestStatus
	.globl	_Z21device_test_warp_maskILj30EEvP10TestStatus
	.p2align	8
	.type	_Z21device_test_warp_maskILj30EEvP10TestStatus,@function
_Z21device_test_warp_maskILj30EEvP10TestStatus: ; @_Z21device_test_warp_maskILj30EEvP10TestStatus
; %bb.0:
	s_mov_b32 s12, 30
	s_mov_b64 s[6:7], 31
	s_mov_b32 s3, 0
	s_branch .LBB79_3
.LBB79_1:                               ;   in Loop: Header=BB79_3 Depth=1
	s_mov_b64 s[10:11], 0
.LBB79_2:                               ;   in Loop: Header=BB79_3 Depth=1
	s_and_b64 vcc, exec, s[8:9]
	s_cbranch_vccnz .LBB79_6
.LBB79_3:                               ; =>This Inner Loop Header: Depth=1
	s_mov_b64 s[0:1], s[6:7]
	s_lshl_b64 s[6:7], 1, s0
	s_and_b32 s2, s6, 0x2aaaaaaa
	s_mov_b64 s[10:11], -1
	s_cmp_lg_u64 s[2:3], 0
	s_mov_b64 s[8:9], -1
                                        ; implicit-def: $sgpr6_sgpr7
                                        ; implicit-def: $sgpr13
	s_cbranch_scc1 .LBB79_2
; %bb.4:                                ;   in Loop: Header=BB79_3 Depth=1
	s_cmp_lg_u32 s0, 63
	s_mov_b32 s13, 63
                                        ; implicit-def: $sgpr6_sgpr7
	s_cbranch_scc0 .LBB79_1
; %bb.5:                                ;   in Loop: Header=BB79_3 Depth=1
	s_add_i32 s2, s0, 1
	s_lshl_b64 s[6:7], 1, s2
	s_or_b32 s13, s12, 1
	s_and_b32 s2, s6, 0x15555554
	s_cmp_lg_u64 s[2:3], 0
	s_cselect_b64 s[8:9], -1, 0
	s_add_u32 s6, s0, 2
	s_addc_u32 s7, s1, 0
	s_add_i32 s12, s12, 2
	s_branch .LBB79_1
.LBB79_6:
	s_and_b64 vcc, exec, s[10:11]
	s_cbranch_vccz .LBB79_8
; %bb.7:
	s_add_i32 s13, s0, -1
.LBB79_8:
	s_load_dwordx2 s[0:1], s[4:5], 0x0
	s_cmp_gt_u32 s13, 62
	s_cselect_b64 s[2:3], -1, 0
	v_cndmask_b32_e64 v1, 0, 1, s[2:3]
	s_waitcnt lgkmcnt(0)
	global_store_byte v0, v1, s[0:1]
	s_endpgm
	.section	.rodata,"a",@progbits
	.p2align	6, 0x0
	.amdhsa_kernel _Z21device_test_warp_maskILj30EEvP10TestStatus
		.amdhsa_group_segment_fixed_size 0
		.amdhsa_private_segment_fixed_size 0
		.amdhsa_kernarg_size 8
		.amdhsa_user_sgpr_count 6
		.amdhsa_user_sgpr_private_segment_buffer 1
		.amdhsa_user_sgpr_dispatch_ptr 0
		.amdhsa_user_sgpr_queue_ptr 0
		.amdhsa_user_sgpr_kernarg_segment_ptr 1
		.amdhsa_user_sgpr_dispatch_id 0
		.amdhsa_user_sgpr_flat_scratch_init 0
		.amdhsa_user_sgpr_kernarg_preload_length 0
		.amdhsa_user_sgpr_kernarg_preload_offset 0
		.amdhsa_user_sgpr_private_segment_size 0
		.amdhsa_uses_dynamic_stack 0
		.amdhsa_system_sgpr_private_segment_wavefront_offset 0
		.amdhsa_system_sgpr_workgroup_id_x 1
		.amdhsa_system_sgpr_workgroup_id_y 0
		.amdhsa_system_sgpr_workgroup_id_z 0
		.amdhsa_system_sgpr_workgroup_info 0
		.amdhsa_system_vgpr_workitem_id 0
		.amdhsa_next_free_vgpr 2
		.amdhsa_next_free_sgpr 14
		.amdhsa_accum_offset 4
		.amdhsa_reserve_vcc 1
		.amdhsa_reserve_flat_scratch 0
		.amdhsa_float_round_mode_32 0
		.amdhsa_float_round_mode_16_64 0
		.amdhsa_float_denorm_mode_32 3
		.amdhsa_float_denorm_mode_16_64 3
		.amdhsa_dx10_clamp 1
		.amdhsa_ieee_mode 1
		.amdhsa_fp16_overflow 0
		.amdhsa_tg_split 0
		.amdhsa_exception_fp_ieee_invalid_op 0
		.amdhsa_exception_fp_denorm_src 0
		.amdhsa_exception_fp_ieee_div_zero 0
		.amdhsa_exception_fp_ieee_overflow 0
		.amdhsa_exception_fp_ieee_underflow 0
		.amdhsa_exception_fp_ieee_inexact 0
		.amdhsa_exception_int_div_zero 0
	.end_amdhsa_kernel
	.section	.text._Z21device_test_warp_maskILj30EEvP10TestStatus,"axG",@progbits,_Z21device_test_warp_maskILj30EEvP10TestStatus,comdat
.Lfunc_end79:
	.size	_Z21device_test_warp_maskILj30EEvP10TestStatus, .Lfunc_end79-_Z21device_test_warp_maskILj30EEvP10TestStatus
                                        ; -- End function
	.section	.AMDGPU.csdata,"",@progbits
; Kernel info:
; codeLenInByte = 168
; NumSgprs: 18
; NumVgprs: 2
; NumAgprs: 0
; TotalNumVgprs: 2
; ScratchSize: 0
; MemoryBound: 0
; FloatMode: 240
; IeeeMode: 1
; LDSByteSize: 0 bytes/workgroup (compile time only)
; SGPRBlocks: 2
; VGPRBlocks: 0
; NumSGPRsForWavesPerEU: 18
; NumVGPRsForWavesPerEU: 2
; AccumOffset: 4
; Occupancy: 8
; WaveLimiterHint : 0
; COMPUTE_PGM_RSRC2:SCRATCH_EN: 0
; COMPUTE_PGM_RSRC2:USER_SGPR: 6
; COMPUTE_PGM_RSRC2:TRAP_HANDLER: 0
; COMPUTE_PGM_RSRC2:TGID_X_EN: 1
; COMPUTE_PGM_RSRC2:TGID_Y_EN: 0
; COMPUTE_PGM_RSRC2:TGID_Z_EN: 0
; COMPUTE_PGM_RSRC2:TIDIG_COMP_CNT: 0
; COMPUTE_PGM_RSRC3_GFX90A:ACCUM_OFFSET: 0
; COMPUTE_PGM_RSRC3_GFX90A:TG_SPLIT: 0
	.section	.text._Z21device_test_warp_maskILj31EEvP10TestStatus,"axG",@progbits,_Z21device_test_warp_maskILj31EEvP10TestStatus,comdat
	.protected	_Z21device_test_warp_maskILj31EEvP10TestStatus ; -- Begin function _Z21device_test_warp_maskILj31EEvP10TestStatus
	.globl	_Z21device_test_warp_maskILj31EEvP10TestStatus
	.p2align	8
	.type	_Z21device_test_warp_maskILj31EEvP10TestStatus,@function
_Z21device_test_warp_maskILj31EEvP10TestStatus: ; @_Z21device_test_warp_maskILj31EEvP10TestStatus
; %bb.0:
	s_mov_b32 s53, 31
	s_mov_b64 s[46:47], 42
	s_mov_b32 s15, 0
	s_branch .LBB80_3
.LBB80_1:                               ;   in Loop: Header=BB80_3 Depth=1
	s_mov_b64 s[44:45], 0
.LBB80_2:                               ;   in Loop: Header=BB80_3 Depth=1
	s_and_b64 vcc, exec, s[50:51]
	s_cbranch_vccnz .LBB80_15
.LBB80_3:                               ; =>This Inner Loop Header: Depth=1
	s_mov_b64 s[0:1], s[46:47]
	s_add_u32 s33, s0, -10
	s_lshl_b64 s[2:3], 1, s33
	s_and_b32 s14, s2, 0x7ffffffe
	s_cmp_lg_u64 s[14:15], 0
	s_mov_b64 s[36:37], 0
	s_mov_b64 s[44:45], 0
	;; [unrolled: 1-line block ×10, first 2 shown]
	s_mov_b64 s[20:21], -1
	s_mov_b64 s[50:51], -1
                                        ; implicit-def: $sgpr46_sgpr47
                                        ; implicit-def: $sgpr52
                                        ; implicit-def: $sgpr2_sgpr3
                                        ; implicit-def: $sgpr6_sgpr7
                                        ; implicit-def: $sgpr8_sgpr9
                                        ; implicit-def: $sgpr10_sgpr11
                                        ; implicit-def: $sgpr12_sgpr13
                                        ; implicit-def: $sgpr16_sgpr17
                                        ; implicit-def: $sgpr26_sgpr27
                                        ; implicit-def: $sgpr42_sgpr43
                                        ; implicit-def: $sgpr48_sgpr49
	s_cbranch_scc1 .LBB80_2
; %bb.4:                                ;   in Loop: Header=BB80_3 Depth=1
	s_add_u32 s2, s0, -9
	s_lshl_b64 s[6:7], 1, s2
	s_and_b32 s14, s6, 0x7ffffffe
	s_mov_b64 s[18:19], -1
	s_mov_b64 s[20:21], 0
	s_cmp_eq_u64 s[14:15], 0
                                        ; implicit-def: $sgpr46_sgpr47
                                        ; implicit-def: $sgpr52
                                        ; implicit-def: $sgpr6_sgpr7
                                        ; implicit-def: $sgpr8_sgpr9
                                        ; implicit-def: $sgpr10_sgpr11
                                        ; implicit-def: $sgpr12_sgpr13
                                        ; implicit-def: $sgpr16_sgpr17
                                        ; implicit-def: $sgpr26_sgpr27
                                        ; implicit-def: $sgpr42_sgpr43
                                        ; implicit-def: $sgpr48_sgpr49
	s_cbranch_scc0 .LBB80_2
; %bb.5:                                ;   in Loop: Header=BB80_3 Depth=1
	s_add_u32 s6, s0, -8
	s_lshl_b64 s[8:9], 1, s6
	s_and_b32 s14, s8, 0x7ffffffe
	s_mov_b64 s[22:23], -1
	s_mov_b64 s[18:19], 0
	s_cmp_eq_u64 s[14:15], 0
                                        ; implicit-def: $sgpr46_sgpr47
                                        ; implicit-def: $sgpr52
                                        ; implicit-def: $sgpr8_sgpr9
                                        ; implicit-def: $sgpr10_sgpr11
                                        ; implicit-def: $sgpr12_sgpr13
                                        ; implicit-def: $sgpr16_sgpr17
                                        ; implicit-def: $sgpr26_sgpr27
                                        ; implicit-def: $sgpr42_sgpr43
                                        ; implicit-def: $sgpr48_sgpr49
	s_cbranch_scc0 .LBB80_2
; %bb.6:                                ;   in Loop: Header=BB80_3 Depth=1
	s_add_u32 s8, s0, -7
	s_lshl_b64 s[10:11], 1, s8
	s_and_b32 s14, s10, 0x7ffffffe
	s_mov_b64 s[24:25], -1
	s_mov_b64 s[22:23], 0
	s_cmp_eq_u64 s[14:15], 0
                                        ; implicit-def: $sgpr46_sgpr47
                                        ; implicit-def: $sgpr52
                                        ; implicit-def: $sgpr10_sgpr11
                                        ; implicit-def: $sgpr12_sgpr13
                                        ; implicit-def: $sgpr16_sgpr17
                                        ; implicit-def: $sgpr26_sgpr27
                                        ; implicit-def: $sgpr42_sgpr43
                                        ; implicit-def: $sgpr48_sgpr49
	s_cbranch_scc0 .LBB80_2
; %bb.7:                                ;   in Loop: Header=BB80_3 Depth=1
	s_add_u32 s10, s0, -6
	s_lshl_b64 s[12:13], 1, s10
	s_and_b32 s14, s12, 0x7ffffffe
	s_mov_b64 s[28:29], -1
	s_mov_b64 s[24:25], 0
	s_cmp_eq_u64 s[14:15], 0
                                        ; implicit-def: $sgpr46_sgpr47
                                        ; implicit-def: $sgpr52
                                        ; implicit-def: $sgpr12_sgpr13
                                        ; implicit-def: $sgpr16_sgpr17
                                        ; implicit-def: $sgpr26_sgpr27
                                        ; implicit-def: $sgpr42_sgpr43
                                        ; implicit-def: $sgpr48_sgpr49
	s_cbranch_scc0 .LBB80_2
; %bb.8:                                ;   in Loop: Header=BB80_3 Depth=1
	s_add_u32 s12, s0, -5
	s_lshl_b64 s[16:17], 1, s12
	s_and_b32 s14, s16, 0x7ffffffe
	s_mov_b64 s[30:31], -1
	s_mov_b64 s[28:29], 0
	s_cmp_eq_u64 s[14:15], 0
                                        ; implicit-def: $sgpr46_sgpr47
                                        ; implicit-def: $sgpr52
                                        ; implicit-def: $sgpr16_sgpr17
                                        ; implicit-def: $sgpr26_sgpr27
                                        ; implicit-def: $sgpr42_sgpr43
                                        ; implicit-def: $sgpr48_sgpr49
	s_cbranch_scc0 .LBB80_2
; %bb.9:                                ;   in Loop: Header=BB80_3 Depth=1
	s_add_u32 s16, s0, -4
	s_lshl_b64 s[26:27], 1, s16
	s_and_b32 s14, s26, 0x7ffffffe
	s_mov_b64 s[34:35], -1
	s_mov_b64 s[30:31], 0
	s_cmp_eq_u64 s[14:15], 0
                                        ; implicit-def: $sgpr46_sgpr47
                                        ; implicit-def: $sgpr52
                                        ; implicit-def: $sgpr26_sgpr27
                                        ; implicit-def: $sgpr42_sgpr43
                                        ; implicit-def: $sgpr48_sgpr49
	s_cbranch_scc0 .LBB80_2
; %bb.10:                               ;   in Loop: Header=BB80_3 Depth=1
	s_add_u32 s26, s0, -3
	s_lshl_b64 s[34:35], 1, s26
	s_and_b32 s14, s34, 0x7ffffffe
	s_mov_b64 s[38:39], -1
	s_mov_b64 s[34:35], 0
	s_cmp_eq_u64 s[14:15], 0
                                        ; implicit-def: $sgpr46_sgpr47
                                        ; implicit-def: $sgpr52
                                        ; implicit-def: $sgpr42_sgpr43
                                        ; implicit-def: $sgpr48_sgpr49
	s_cbranch_scc0 .LBB80_2
; %bb.11:                               ;   in Loop: Header=BB80_3 Depth=1
	s_add_u32 s42, s0, -2
	s_lshl_b64 s[36:37], 1, s42
	s_and_b32 s14, s36, 0x7ffffffe
	s_mov_b64 s[40:41], -1
	s_mov_b64 s[38:39], 0
	s_cmp_eq_u64 s[14:15], 0
	s_mov_b64 s[36:37], 0
                                        ; implicit-def: $sgpr46_sgpr47
                                        ; implicit-def: $sgpr52
                                        ; implicit-def: $sgpr48_sgpr49
	s_cbranch_scc0 .LBB80_2
; %bb.12:                               ;   in Loop: Header=BB80_3 Depth=1
	s_add_u32 s48, s0, -1
	s_lshl_b64 s[36:37], 1, s48
	s_and_b32 s14, s36, 0x7ffffffe
	s_mov_b64 s[44:45], -1
	s_mov_b64 s[40:41], 0
	s_cmp_eq_u64 s[14:15], 0
	s_mov_b64 s[36:37], 0
                                        ; implicit-def: $sgpr46_sgpr47
                                        ; implicit-def: $sgpr52
	s_cbranch_scc0 .LBB80_2
; %bb.13:                               ;   in Loop: Header=BB80_3 Depth=1
	s_mov_b64 s[36:37], -1
	s_cmp_lg_u32 s0, 64
                                        ; implicit-def: $sgpr46_sgpr47
                                        ; implicit-def: $sgpr52
	s_cbranch_scc0 .LBB80_1
; %bb.14:                               ;   in Loop: Header=BB80_3 Depth=1
	s_lshl_b64 s[36:37], 1, s0
	s_add_i32 s52, s53, 10
	s_and_b32 s14, s36, 0x7ffffffe
	s_cmp_lg_u64 s[14:15], 0
	s_cselect_b64 s[50:51], -1, 0
	s_add_u32 s46, s0, 11
	s_addc_u32 s47, s1, 0
	s_add_i32 s53, s53, 11
	s_mov_b64 s[36:37], 0
	s_branch .LBB80_1
.LBB80_15:
	s_mov_b64 s[14:15], -1
	s_and_b64 vcc, exec, s[20:21]
	s_cbranch_vccnz .LBB80_61
; %bb.16:
	s_xor_b64 s[14:15], s[18:19], -1
	s_andn2_b64 vcc, exec, s[14:15]
	s_cbranch_vccnz .LBB80_28
; %bb.17:
	s_xor_b64 s[14:15], s[22:23], -1
	s_andn2_b64 vcc, exec, s[14:15]
	;; [unrolled: 4-line block ×9, first 2 shown]
	s_cbranch_vccnz .LBB80_36
; %bb.25:
	s_and_b64 vcc, exec, s[36:37]
	s_cbranch_vccz .LBB80_27
; %bb.26:
	s_mov_b32 s52, s48
.LBB80_27:
	s_mov_b64 s[14:15], 0
	s_branch .LBB80_37
.LBB80_28:
                                        ; implicit-def: $sgpr52
	s_branch .LBB80_59
.LBB80_29:
                                        ; implicit-def: $sgpr52
	s_branch .LBB80_57
.LBB80_30:
                                        ; implicit-def: $sgpr52
	s_branch .LBB80_55
.LBB80_31:
	s_mov_b64 s[10:11], -1
                                        ; implicit-def: $sgpr52
	s_branch .LBB80_52
.LBB80_32:
	s_mov_b64 s[12:13], -1
                                        ; implicit-def: $sgpr52
	s_branch .LBB80_49
.LBB80_33:
	s_mov_b64 s[14:15], -1
                                        ; implicit-def: $sgpr52
	s_branch .LBB80_46
.LBB80_34:
	s_mov_b64 s[14:15], -1
                                        ; implicit-def: $sgpr52
	s_branch .LBB80_43
.LBB80_35:
	s_mov_b64 s[14:15], -1
                                        ; implicit-def: $sgpr52
	s_branch .LBB80_40
.LBB80_36:
	s_mov_b64 s[14:15], -1
                                        ; implicit-def: $sgpr52
.LBB80_37:
	s_andn2_b64 vcc, exec, s[14:15]
	s_cbranch_vccnz .LBB80_39
; %bb.38:
	s_mov_b32 s52, s42
.LBB80_39:
	s_mov_b64 s[14:15], 0
.LBB80_40:
	s_andn2_b64 vcc, exec, s[14:15]
	s_cbranch_vccnz .LBB80_42
; %bb.41:
	s_mov_b32 s52, s26
.LBB80_42:
	s_mov_b64 s[14:15], 0
.LBB80_43:
	s_andn2_b64 vcc, exec, s[14:15]
	s_cbranch_vccnz .LBB80_45
; %bb.44:
	s_mov_b32 s52, s16
.LBB80_45:
	s_mov_b64 s[14:15], 0
.LBB80_46:
	s_andn2_b64 vcc, exec, s[14:15]
	s_cbranch_vccnz .LBB80_48
; %bb.47:
	s_mov_b32 s52, s12
.LBB80_48:
	s_mov_b64 s[12:13], 0
.LBB80_49:
	s_andn2_b64 vcc, exec, s[12:13]
	s_cbranch_vccnz .LBB80_51
; %bb.50:
	s_mov_b32 s52, s10
.LBB80_51:
	s_mov_b64 s[10:11], 0
.LBB80_52:
	s_andn2_b64 vcc, exec, s[10:11]
	s_cbranch_vccnz .LBB80_54
; %bb.53:
	s_mov_b32 s52, s8
.LBB80_54:
	s_cbranch_execnz .LBB80_56
.LBB80_55:
	s_mov_b32 s52, s6
.LBB80_56:
	s_cbranch_execnz .LBB80_58
.LBB80_57:
	s_mov_b32 s52, s2
.LBB80_58:
	s_cbranch_execnz .LBB80_60
.LBB80_59:
	s_mov_b32 s52, s33
.LBB80_60:
	s_mov_b64 s[14:15], 0
.LBB80_61:
	s_andn2_b64 vcc, exec, s[14:15]
	s_cbranch_vccnz .LBB80_63
; %bb.62:
	s_add_i32 s52, s0, -11
.LBB80_63:
	s_load_dwordx2 s[0:1], s[4:5], 0x0
	s_cmp_gt_u32 s52, 62
	s_cselect_b64 s[2:3], -1, 0
	v_cndmask_b32_e64 v1, 0, 1, s[2:3]
	s_waitcnt lgkmcnt(0)
	global_store_byte v0, v1, s[0:1]
	s_endpgm
	.section	.rodata,"a",@progbits
	.p2align	6, 0x0
	.amdhsa_kernel _Z21device_test_warp_maskILj31EEvP10TestStatus
		.amdhsa_group_segment_fixed_size 0
		.amdhsa_private_segment_fixed_size 0
		.amdhsa_kernarg_size 8
		.amdhsa_user_sgpr_count 6
		.amdhsa_user_sgpr_private_segment_buffer 1
		.amdhsa_user_sgpr_dispatch_ptr 0
		.amdhsa_user_sgpr_queue_ptr 0
		.amdhsa_user_sgpr_kernarg_segment_ptr 1
		.amdhsa_user_sgpr_dispatch_id 0
		.amdhsa_user_sgpr_flat_scratch_init 0
		.amdhsa_user_sgpr_kernarg_preload_length 0
		.amdhsa_user_sgpr_kernarg_preload_offset 0
		.amdhsa_user_sgpr_private_segment_size 0
		.amdhsa_uses_dynamic_stack 0
		.amdhsa_system_sgpr_private_segment_wavefront_offset 0
		.amdhsa_system_sgpr_workgroup_id_x 1
		.amdhsa_system_sgpr_workgroup_id_y 0
		.amdhsa_system_sgpr_workgroup_id_z 0
		.amdhsa_system_sgpr_workgroup_info 0
		.amdhsa_system_vgpr_workitem_id 0
		.amdhsa_next_free_vgpr 2
		.amdhsa_next_free_sgpr 54
		.amdhsa_accum_offset 4
		.amdhsa_reserve_vcc 1
		.amdhsa_reserve_flat_scratch 0
		.amdhsa_float_round_mode_32 0
		.amdhsa_float_round_mode_16_64 0
		.amdhsa_float_denorm_mode_32 3
		.amdhsa_float_denorm_mode_16_64 3
		.amdhsa_dx10_clamp 1
		.amdhsa_ieee_mode 1
		.amdhsa_fp16_overflow 0
		.amdhsa_tg_split 0
		.amdhsa_exception_fp_ieee_invalid_op 0
		.amdhsa_exception_fp_denorm_src 0
		.amdhsa_exception_fp_ieee_div_zero 0
		.amdhsa_exception_fp_ieee_overflow 0
		.amdhsa_exception_fp_ieee_underflow 0
		.amdhsa_exception_fp_ieee_inexact 0
		.amdhsa_exception_int_div_zero 0
	.end_amdhsa_kernel
	.section	.text._Z21device_test_warp_maskILj31EEvP10TestStatus,"axG",@progbits,_Z21device_test_warp_maskILj31EEvP10TestStatus,comdat
.Lfunc_end80:
	.size	_Z21device_test_warp_maskILj31EEvP10TestStatus, .Lfunc_end80-_Z21device_test_warp_maskILj31EEvP10TestStatus
                                        ; -- End function
	.section	.AMDGPU.csdata,"",@progbits
; Kernel info:
; codeLenInByte = 824
; NumSgprs: 58
; NumVgprs: 2
; NumAgprs: 0
; TotalNumVgprs: 2
; ScratchSize: 0
; MemoryBound: 0
; FloatMode: 240
; IeeeMode: 1
; LDSByteSize: 0 bytes/workgroup (compile time only)
; SGPRBlocks: 7
; VGPRBlocks: 0
; NumSGPRsForWavesPerEU: 58
; NumVGPRsForWavesPerEU: 2
; AccumOffset: 4
; Occupancy: 8
; WaveLimiterHint : 0
; COMPUTE_PGM_RSRC2:SCRATCH_EN: 0
; COMPUTE_PGM_RSRC2:USER_SGPR: 6
; COMPUTE_PGM_RSRC2:TRAP_HANDLER: 0
; COMPUTE_PGM_RSRC2:TGID_X_EN: 1
; COMPUTE_PGM_RSRC2:TGID_Y_EN: 0
; COMPUTE_PGM_RSRC2:TGID_Z_EN: 0
; COMPUTE_PGM_RSRC2:TIDIG_COMP_CNT: 0
; COMPUTE_PGM_RSRC3_GFX90A:ACCUM_OFFSET: 0
; COMPUTE_PGM_RSRC3_GFX90A:TG_SPLIT: 0
	.section	.text._Z21device_test_warp_maskILj32EEvP10TestStatus,"axG",@progbits,_Z21device_test_warp_maskILj32EEvP10TestStatus,comdat
	.protected	_Z21device_test_warp_maskILj32EEvP10TestStatus ; -- Begin function _Z21device_test_warp_maskILj32EEvP10TestStatus
	.globl	_Z21device_test_warp_maskILj32EEvP10TestStatus
	.p2align	8
	.type	_Z21device_test_warp_maskILj32EEvP10TestStatus,@function
_Z21device_test_warp_maskILj32EEvP10TestStatus: ; @_Z21device_test_warp_maskILj32EEvP10TestStatus
; %bb.0:
	v_mbcnt_lo_u32_b32 v1, -1, 0
	v_mbcnt_hi_u32_b32 v5, -1, v1
	v_and_b32_e32 v4, 0x60, v5
	s_mov_b64 s[0:1], 0xffffffff
	v_lshlrev_b64 v[2:3], v4, s[0:1]
	v_cmp_ne_u32_e32 vcc, 0, v4
	s_mov_b64 s[2:3], -1
                                        ; implicit-def: $sgpr8
	s_and_saveexec_b64 s[0:1], vcc
	s_cbranch_execnz .LBB81_3
; %bb.1:
	s_or_b64 exec, exec, s[0:1]
	v_mov_b32_e32 v1, s8
	s_and_saveexec_b64 s[6:7], s[2:3]
	s_cbranch_execnz .LBB81_8
.LBB81_2:
	s_or_b64 exec, exec, s[6:7]
	s_load_dwordx2 s[0:1], s[4:5], 0x0
	s_waitcnt lgkmcnt(0)
	global_store_byte v0, v1, s[0:1]
	s_endpgm
.LBB81_3:
	v_mov_b32_e32 v7, 0
	s_mov_b64 s[2:3], 0
	s_mov_b64 s[12:13], 0
                                        ; implicit-def: $sgpr6_sgpr7
                                        ; implicit-def: $sgpr10_sgpr11
                                        ; implicit-def: $sgpr8_sgpr9
	s_branch .LBB81_5
.LBB81_4:                               ;   in Loop: Header=BB81_5 Depth=1
	s_or_b64 exec, exec, s[14:15]
	s_xor_b64 s[14:15], s[8:9], -1
	s_and_b64 s[16:17], exec, s[10:11]
	s_or_b64 s[2:3], s[16:17], s[2:3]
	s_andn2_b64 s[6:7], s[6:7], exec
	s_and_b64 s[14:15], s[14:15], exec
	s_or_b64 s[6:7], s[6:7], s[14:15]
	s_andn2_b64 exec, exec, s[2:3]
	s_cbranch_execz .LBB81_7
.LBB81_5:                               ; =>This Inner Loop Header: Depth=1
	v_lshrrev_b64 v[8:9], s12, v[2:3]
	v_and_b32_e32 v6, 1, v8
	v_cmp_eq_u64_e32 vcc, 0, v[6:7]
	s_or_b64 s[8:9], s[8:9], exec
	s_or_b64 s[10:11], s[10:11], exec
	s_and_saveexec_b64 s[14:15], vcc
	s_cbranch_execz .LBB81_4
; %bb.6:                                ;   in Loop: Header=BB81_5 Depth=1
	s_add_u32 s12, s12, 1
	v_cmp_eq_u32_e32 vcc, s12, v4
	s_addc_u32 s13, s13, 0
	s_andn2_b64 s[10:11], s[10:11], exec
	s_and_b64 s[16:17], vcc, exec
	s_andn2_b64 s[8:9], s[8:9], exec
	s_or_b64 s[10:11], s[10:11], s[16:17]
	s_branch .LBB81_4
.LBB81_7:
	s_or_b64 exec, exec, s[2:3]
	s_mov_b32 s8, 0
	s_orn2_b64 s[2:3], s[6:7], exec
	s_or_b64 exec, exec, s[0:1]
	v_mov_b32_e32 v1, s8
	s_and_saveexec_b64 s[6:7], s[2:3]
	s_cbranch_execz .LBB81_2
.LBB81_8:
	s_movk_i32 s0, 0xffe0
	v_cmp_gt_u32_e32 vcc, s0, v5
	s_mov_b64 s[2:3], -1
                                        ; implicit-def: $vgpr1
	s_and_saveexec_b64 s[0:1], vcc
	s_cbranch_execz .LBB81_28
; %bb.9:
	v_and_b32_e32 v6, 0x60, v5
	s_mov_b64 s[2:3], 0
	s_mov_b64 s[12:13], 0
	s_mov_b32 s33, 0
                                        ; implicit-def: $sgpr8_sgpr9
                                        ; implicit-def: $sgpr10_sgpr11
                                        ; implicit-def: $sgpr14_sgpr15
	s_branch .LBB81_18
.LBB81_10:                              ;   in Loop: Header=BB81_18 Depth=1
	s_or_b64 exec, exec, s[34:35]
	s_orn2_b64 s[34:35], s[36:37], exec
	s_orn2_b64 s[30:31], s[30:31], exec
.LBB81_11:                              ;   in Loop: Header=BB81_18 Depth=1
	s_or_b64 exec, exec, s[28:29]
	v_mov_b32_e32 v1, s33
	s_orn2_b64 s[34:35], s[34:35], exec
	s_orn2_b64 s[28:29], s[30:31], exec
.LBB81_12:                              ;   in Loop: Header=BB81_18 Depth=1
	s_or_b64 exec, exec, s[26:27]
	s_orn2_b64 s[30:31], s[34:35], exec
	s_orn2_b64 s[26:27], s[28:29], exec
.LBB81_13:                              ;   in Loop: Header=BB81_18 Depth=1
	s_or_b64 exec, exec, s[24:25]
	s_orn2_b64 s[28:29], s[30:31], exec
	s_orn2_b64 s[24:25], s[26:27], exec
.LBB81_14:                              ;   in Loop: Header=BB81_18 Depth=1
	s_or_b64 exec, exec, s[22:23]
	s_orn2_b64 s[26:27], s[28:29], exec
	s_orn2_b64 s[22:23], s[24:25], exec
.LBB81_15:                              ;   in Loop: Header=BB81_18 Depth=1
	s_or_b64 exec, exec, s[20:21]
	s_orn2_b64 s[24:25], s[26:27], exec
	s_orn2_b64 s[20:21], s[22:23], exec
.LBB81_16:                              ;   in Loop: Header=BB81_18 Depth=1
	s_or_b64 exec, exec, s[18:19]
	s_andn2_b64 s[14:15], s[14:15], exec
	s_and_b64 s[18:19], s[24:25], exec
	s_or_b64 s[14:15], s[14:15], s[18:19]
	s_andn2_b64 s[10:11], s[10:11], exec
	s_and_b64 s[18:19], s[20:21], exec
	s_or_b64 s[10:11], s[10:11], s[18:19]
.LBB81_17:                              ;   in Loop: Header=BB81_18 Depth=1
	s_or_b64 exec, exec, s[16:17]
	s_xor_b64 s[16:17], s[14:15], -1
	s_and_b64 s[18:19], exec, s[10:11]
	s_or_b64 s[2:3], s[18:19], s[2:3]
	s_andn2_b64 s[8:9], s[8:9], exec
	s_and_b64 s[16:17], s[16:17], exec
	s_or_b64 s[8:9], s[8:9], s[16:17]
	s_andn2_b64 exec, exec, s[2:3]
	s_cbranch_execz .LBB81_27
.LBB81_18:                              ; =>This Inner Loop Header: Depth=1
	v_add_co_u32_e32 v5, vcc, s12, v6
	v_lshrrev_b64 v[8:9], v5, v[2:3]
	v_and_b32_e32 v1, 1, v8
	v_cmp_eq_u32_e32 vcc, 1, v1
	s_or_b64 s[14:15], s[14:15], exec
	s_or_b64 s[10:11], s[10:11], exec
	v_mov_b32_e32 v1, 0
	s_and_saveexec_b64 s[16:17], vcc
	s_xor_b64 s[16:17], exec, s[16:17]
	s_cbranch_execz .LBB81_17
; %bb.19:                               ;   in Loop: Header=BB81_18 Depth=1
	v_add_u32_e32 v1, 1, v5
	v_lshrrev_b64 v[8:9], v1, v[2:3]
	v_and_b32_e32 v1, 1, v8
	v_cmp_eq_u32_e32 vcc, 1, v1
	s_mov_b64 s[20:21], -1
	v_mov_b32_e32 v1, 0
	s_mov_b64 s[24:25], -1
	s_and_saveexec_b64 s[18:19], vcc
	s_cbranch_execz .LBB81_16
; %bb.20:                               ;   in Loop: Header=BB81_18 Depth=1
	v_add_u32_e32 v1, 2, v5
	v_lshrrev_b64 v[8:9], v1, v[2:3]
	v_and_b32_e32 v1, 1, v8
	v_cmp_eq_u32_e32 vcc, 1, v1
	s_mov_b64 s[22:23], -1
	v_mov_b32_e32 v1, 0
	s_mov_b64 s[26:27], -1
	s_and_saveexec_b64 s[20:21], vcc
	s_cbranch_execz .LBB81_15
; %bb.21:                               ;   in Loop: Header=BB81_18 Depth=1
	v_add_u32_e32 v1, 3, v5
	v_lshrrev_b64 v[8:9], v1, v[2:3]
	v_and_b32_e32 v1, 1, v8
	v_cmp_eq_u32_e32 vcc, 1, v1
	v_mov_b32_e32 v1, 0
	s_mov_b64 s[28:29], -1
	s_and_saveexec_b64 s[22:23], vcc
	s_cbranch_execz .LBB81_14
; %bb.22:                               ;   in Loop: Header=BB81_18 Depth=1
	v_add_u32_e32 v1, 4, v5
	v_lshrrev_b64 v[8:9], v1, v[2:3]
	v_and_b32_e32 v1, 1, v8
	v_cmp_eq_u32_e32 vcc, 1, v1
	;; [unrolled: 9-line block ×4, first 2 shown]
	s_and_saveexec_b64 s[28:29], vcc
	s_cbranch_execz .LBB81_11
; %bb.25:                               ;   in Loop: Header=BB81_18 Depth=1
	v_add_u32_e32 v1, 7, v5
	v_lshrrev_b64 v[8:9], v1, v[2:3]
	v_and_b32_e32 v1, 1, v8
	v_cmp_eq_u32_e32 vcc, 1, v1
	s_mov_b64 s[36:37], -1
	s_and_saveexec_b64 s[34:35], vcc
	s_cbranch_execz .LBB81_10
; %bb.26:                               ;   in Loop: Header=BB81_18 Depth=1
	s_add_u32 s12, s12, 8
	s_addc_u32 s13, s13, 0
	s_cmp_eq_u32 s12, 32
	s_cselect_b64 s[30:31], -1, 0
	s_xor_b64 s[36:37], exec, -1
	s_orn2_b64 s[30:31], s[30:31], exec
	s_branch .LBB81_10
.LBB81_27:
	s_or_b64 exec, exec, s[2:3]
	s_orn2_b64 s[2:3], s[8:9], exec
.LBB81_28:
	s_or_b64 exec, exec, s[0:1]
	s_and_saveexec_b64 s[8:9], s[2:3]
	s_cbranch_execz .LBB81_34
; %bb.29:
	v_add_u32_e32 v4, 32, v4
	v_cmp_gt_u32_e32 vcc, 64, v4
	s_mov_b64 s[0:1], -1
	s_and_saveexec_b64 s[10:11], vcc
	s_cbranch_execz .LBB81_33
; %bb.30:
	v_mov_b32_e32 v1, 0
	s_mov_b64 s[12:13], 0
                                        ; implicit-def: $sgpr14_sgpr15
.LBB81_31:                              ; =>This Inner Loop Header: Depth=1
	v_lshlrev_b64 v[6:7], v4, 1
	v_and_b32_e32 v7, v7, v3
	v_and_b32_e32 v6, v6, v2
	v_cmp_lt_u32_e32 vcc, 62, v4
	v_cmp_ne_u64_e64 s[2:3], 0, v[6:7]
	v_add_co_u32_e64 v4, s[0:1], 1, v4
	s_or_b64 s[2:3], vcc, s[2:3]
	v_addc_co_u32_e64 v1, s[0:1], 0, v1, s[0:1]
	s_and_b64 s[2:3], exec, s[2:3]
	v_cmp_eq_u64_e64 s[0:1], 0, v[6:7]
	s_or_b64 s[12:13], s[2:3], s[12:13]
	s_andn2_b64 s[2:3], s[14:15], exec
	s_and_b64 s[0:1], s[0:1], exec
	s_or_b64 s[14:15], s[2:3], s[0:1]
	s_andn2_b64 exec, exec, s[12:13]
	s_cbranch_execnz .LBB81_31
; %bb.32:
	s_or_b64 exec, exec, s[12:13]
	s_orn2_b64 s[0:1], s[14:15], exec
.LBB81_33:
	s_or_b64 exec, exec, s[10:11]
	v_cndmask_b32_e64 v1, 0, 1, s[0:1]
.LBB81_34:
	s_or_b64 exec, exec, s[8:9]
	s_or_b64 exec, exec, s[6:7]
	s_load_dwordx2 s[0:1], s[4:5], 0x0
	s_waitcnt lgkmcnt(0)
	global_store_byte v0, v1, s[0:1]
	s_endpgm
	.section	.rodata,"a",@progbits
	.p2align	6, 0x0
	.amdhsa_kernel _Z21device_test_warp_maskILj32EEvP10TestStatus
		.amdhsa_group_segment_fixed_size 0
		.amdhsa_private_segment_fixed_size 0
		.amdhsa_kernarg_size 8
		.amdhsa_user_sgpr_count 6
		.amdhsa_user_sgpr_private_segment_buffer 1
		.amdhsa_user_sgpr_dispatch_ptr 0
		.amdhsa_user_sgpr_queue_ptr 0
		.amdhsa_user_sgpr_kernarg_segment_ptr 1
		.amdhsa_user_sgpr_dispatch_id 0
		.amdhsa_user_sgpr_flat_scratch_init 0
		.amdhsa_user_sgpr_kernarg_preload_length 0
		.amdhsa_user_sgpr_kernarg_preload_offset 0
		.amdhsa_user_sgpr_private_segment_size 0
		.amdhsa_uses_dynamic_stack 0
		.amdhsa_system_sgpr_private_segment_wavefront_offset 0
		.amdhsa_system_sgpr_workgroup_id_x 1
		.amdhsa_system_sgpr_workgroup_id_y 0
		.amdhsa_system_sgpr_workgroup_id_z 0
		.amdhsa_system_sgpr_workgroup_info 0
		.amdhsa_system_vgpr_workitem_id 0
		.amdhsa_next_free_vgpr 10
		.amdhsa_next_free_sgpr 38
		.amdhsa_accum_offset 12
		.amdhsa_reserve_vcc 1
		.amdhsa_reserve_flat_scratch 0
		.amdhsa_float_round_mode_32 0
		.amdhsa_float_round_mode_16_64 0
		.amdhsa_float_denorm_mode_32 3
		.amdhsa_float_denorm_mode_16_64 3
		.amdhsa_dx10_clamp 1
		.amdhsa_ieee_mode 1
		.amdhsa_fp16_overflow 0
		.amdhsa_tg_split 0
		.amdhsa_exception_fp_ieee_invalid_op 0
		.amdhsa_exception_fp_denorm_src 0
		.amdhsa_exception_fp_ieee_div_zero 0
		.amdhsa_exception_fp_ieee_overflow 0
		.amdhsa_exception_fp_ieee_underflow 0
		.amdhsa_exception_fp_ieee_inexact 0
		.amdhsa_exception_int_div_zero 0
	.end_amdhsa_kernel
	.section	.text._Z21device_test_warp_maskILj32EEvP10TestStatus,"axG",@progbits,_Z21device_test_warp_maskILj32EEvP10TestStatus,comdat
.Lfunc_end81:
	.size	_Z21device_test_warp_maskILj32EEvP10TestStatus, .Lfunc_end81-_Z21device_test_warp_maskILj32EEvP10TestStatus
                                        ; -- End function
	.section	.AMDGPU.csdata,"",@progbits
; Kernel info:
; codeLenInByte = 932
; NumSgprs: 42
; NumVgprs: 10
; NumAgprs: 0
; TotalNumVgprs: 10
; ScratchSize: 0
; MemoryBound: 0
; FloatMode: 240
; IeeeMode: 1
; LDSByteSize: 0 bytes/workgroup (compile time only)
; SGPRBlocks: 5
; VGPRBlocks: 1
; NumSGPRsForWavesPerEU: 42
; NumVGPRsForWavesPerEU: 10
; AccumOffset: 12
; Occupancy: 8
; WaveLimiterHint : 0
; COMPUTE_PGM_RSRC2:SCRATCH_EN: 0
; COMPUTE_PGM_RSRC2:USER_SGPR: 6
; COMPUTE_PGM_RSRC2:TRAP_HANDLER: 0
; COMPUTE_PGM_RSRC2:TGID_X_EN: 1
; COMPUTE_PGM_RSRC2:TGID_Y_EN: 0
; COMPUTE_PGM_RSRC2:TGID_Z_EN: 0
; COMPUTE_PGM_RSRC2:TIDIG_COMP_CNT: 0
; COMPUTE_PGM_RSRC3_GFX90A:ACCUM_OFFSET: 2
; COMPUTE_PGM_RSRC3_GFX90A:TG_SPLIT: 0
	.section	.text._Z21device_test_warp_maskILj33EEvP10TestStatus,"axG",@progbits,_Z21device_test_warp_maskILj33EEvP10TestStatus,comdat
	.protected	_Z21device_test_warp_maskILj33EEvP10TestStatus ; -- Begin function _Z21device_test_warp_maskILj33EEvP10TestStatus
	.globl	_Z21device_test_warp_maskILj33EEvP10TestStatus
	.p2align	8
	.type	_Z21device_test_warp_maskILj33EEvP10TestStatus,@function
_Z21device_test_warp_maskILj33EEvP10TestStatus: ; @_Z21device_test_warp_maskILj33EEvP10TestStatus
; %bb.0:
	s_load_dwordx2 s[0:1], s[4:5], 0x0
	v_mov_b32_e32 v1, 1
	s_waitcnt lgkmcnt(0)
	global_store_byte v0, v1, s[0:1]
	s_endpgm
	.section	.rodata,"a",@progbits
	.p2align	6, 0x0
	.amdhsa_kernel _Z21device_test_warp_maskILj33EEvP10TestStatus
		.amdhsa_group_segment_fixed_size 0
		.amdhsa_private_segment_fixed_size 0
		.amdhsa_kernarg_size 8
		.amdhsa_user_sgpr_count 6
		.amdhsa_user_sgpr_private_segment_buffer 1
		.amdhsa_user_sgpr_dispatch_ptr 0
		.amdhsa_user_sgpr_queue_ptr 0
		.amdhsa_user_sgpr_kernarg_segment_ptr 1
		.amdhsa_user_sgpr_dispatch_id 0
		.amdhsa_user_sgpr_flat_scratch_init 0
		.amdhsa_user_sgpr_kernarg_preload_length 0
		.amdhsa_user_sgpr_kernarg_preload_offset 0
		.amdhsa_user_sgpr_private_segment_size 0
		.amdhsa_uses_dynamic_stack 0
		.amdhsa_system_sgpr_private_segment_wavefront_offset 0
		.amdhsa_system_sgpr_workgroup_id_x 1
		.amdhsa_system_sgpr_workgroup_id_y 0
		.amdhsa_system_sgpr_workgroup_id_z 0
		.amdhsa_system_sgpr_workgroup_info 0
		.amdhsa_system_vgpr_workitem_id 0
		.amdhsa_next_free_vgpr 2
		.amdhsa_next_free_sgpr 6
		.amdhsa_accum_offset 4
		.amdhsa_reserve_vcc 0
		.amdhsa_reserve_flat_scratch 0
		.amdhsa_float_round_mode_32 0
		.amdhsa_float_round_mode_16_64 0
		.amdhsa_float_denorm_mode_32 3
		.amdhsa_float_denorm_mode_16_64 3
		.amdhsa_dx10_clamp 1
		.amdhsa_ieee_mode 1
		.amdhsa_fp16_overflow 0
		.amdhsa_tg_split 0
		.amdhsa_exception_fp_ieee_invalid_op 0
		.amdhsa_exception_fp_denorm_src 0
		.amdhsa_exception_fp_ieee_div_zero 0
		.amdhsa_exception_fp_ieee_overflow 0
		.amdhsa_exception_fp_ieee_underflow 0
		.amdhsa_exception_fp_ieee_inexact 0
		.amdhsa_exception_int_div_zero 0
	.end_amdhsa_kernel
	.section	.text._Z21device_test_warp_maskILj33EEvP10TestStatus,"axG",@progbits,_Z21device_test_warp_maskILj33EEvP10TestStatus,comdat
.Lfunc_end82:
	.size	_Z21device_test_warp_maskILj33EEvP10TestStatus, .Lfunc_end82-_Z21device_test_warp_maskILj33EEvP10TestStatus
                                        ; -- End function
	.section	.AMDGPU.csdata,"",@progbits
; Kernel info:
; codeLenInByte = 28
; NumSgprs: 10
; NumVgprs: 2
; NumAgprs: 0
; TotalNumVgprs: 2
; ScratchSize: 0
; MemoryBound: 0
; FloatMode: 240
; IeeeMode: 1
; LDSByteSize: 0 bytes/workgroup (compile time only)
; SGPRBlocks: 1
; VGPRBlocks: 0
; NumSGPRsForWavesPerEU: 10
; NumVGPRsForWavesPerEU: 2
; AccumOffset: 4
; Occupancy: 8
; WaveLimiterHint : 0
; COMPUTE_PGM_RSRC2:SCRATCH_EN: 0
; COMPUTE_PGM_RSRC2:USER_SGPR: 6
; COMPUTE_PGM_RSRC2:TRAP_HANDLER: 0
; COMPUTE_PGM_RSRC2:TGID_X_EN: 1
; COMPUTE_PGM_RSRC2:TGID_Y_EN: 0
; COMPUTE_PGM_RSRC2:TGID_Z_EN: 0
; COMPUTE_PGM_RSRC2:TIDIG_COMP_CNT: 0
; COMPUTE_PGM_RSRC3_GFX90A:ACCUM_OFFSET: 0
; COMPUTE_PGM_RSRC3_GFX90A:TG_SPLIT: 0
	.section	.text._Z21device_test_warp_maskILj34EEvP10TestStatus,"axG",@progbits,_Z21device_test_warp_maskILj34EEvP10TestStatus,comdat
	.protected	_Z21device_test_warp_maskILj34EEvP10TestStatus ; -- Begin function _Z21device_test_warp_maskILj34EEvP10TestStatus
	.globl	_Z21device_test_warp_maskILj34EEvP10TestStatus
	.p2align	8
	.type	_Z21device_test_warp_maskILj34EEvP10TestStatus,@function
_Z21device_test_warp_maskILj34EEvP10TestStatus: ; @_Z21device_test_warp_maskILj34EEvP10TestStatus
; %bb.0:
	s_load_dwordx2 s[0:1], s[4:5], 0x0
	v_mov_b32_e32 v1, 1
	s_waitcnt lgkmcnt(0)
	global_store_byte v0, v1, s[0:1]
	s_endpgm
	.section	.rodata,"a",@progbits
	.p2align	6, 0x0
	.amdhsa_kernel _Z21device_test_warp_maskILj34EEvP10TestStatus
		.amdhsa_group_segment_fixed_size 0
		.amdhsa_private_segment_fixed_size 0
		.amdhsa_kernarg_size 8
		.amdhsa_user_sgpr_count 6
		.amdhsa_user_sgpr_private_segment_buffer 1
		.amdhsa_user_sgpr_dispatch_ptr 0
		.amdhsa_user_sgpr_queue_ptr 0
		.amdhsa_user_sgpr_kernarg_segment_ptr 1
		.amdhsa_user_sgpr_dispatch_id 0
		.amdhsa_user_sgpr_flat_scratch_init 0
		.amdhsa_user_sgpr_kernarg_preload_length 0
		.amdhsa_user_sgpr_kernarg_preload_offset 0
		.amdhsa_user_sgpr_private_segment_size 0
		.amdhsa_uses_dynamic_stack 0
		.amdhsa_system_sgpr_private_segment_wavefront_offset 0
		.amdhsa_system_sgpr_workgroup_id_x 1
		.amdhsa_system_sgpr_workgroup_id_y 0
		.amdhsa_system_sgpr_workgroup_id_z 0
		.amdhsa_system_sgpr_workgroup_info 0
		.amdhsa_system_vgpr_workitem_id 0
		.amdhsa_next_free_vgpr 2
		.amdhsa_next_free_sgpr 6
		.amdhsa_accum_offset 4
		.amdhsa_reserve_vcc 0
		.amdhsa_reserve_flat_scratch 0
		.amdhsa_float_round_mode_32 0
		.amdhsa_float_round_mode_16_64 0
		.amdhsa_float_denorm_mode_32 3
		.amdhsa_float_denorm_mode_16_64 3
		.amdhsa_dx10_clamp 1
		.amdhsa_ieee_mode 1
		.amdhsa_fp16_overflow 0
		.amdhsa_tg_split 0
		.amdhsa_exception_fp_ieee_invalid_op 0
		.amdhsa_exception_fp_denorm_src 0
		.amdhsa_exception_fp_ieee_div_zero 0
		.amdhsa_exception_fp_ieee_overflow 0
		.amdhsa_exception_fp_ieee_underflow 0
		.amdhsa_exception_fp_ieee_inexact 0
		.amdhsa_exception_int_div_zero 0
	.end_amdhsa_kernel
	.section	.text._Z21device_test_warp_maskILj34EEvP10TestStatus,"axG",@progbits,_Z21device_test_warp_maskILj34EEvP10TestStatus,comdat
.Lfunc_end83:
	.size	_Z21device_test_warp_maskILj34EEvP10TestStatus, .Lfunc_end83-_Z21device_test_warp_maskILj34EEvP10TestStatus
                                        ; -- End function
	.section	.AMDGPU.csdata,"",@progbits
; Kernel info:
; codeLenInByte = 28
; NumSgprs: 10
; NumVgprs: 2
; NumAgprs: 0
; TotalNumVgprs: 2
; ScratchSize: 0
; MemoryBound: 0
; FloatMode: 240
; IeeeMode: 1
; LDSByteSize: 0 bytes/workgroup (compile time only)
; SGPRBlocks: 1
; VGPRBlocks: 0
; NumSGPRsForWavesPerEU: 10
; NumVGPRsForWavesPerEU: 2
; AccumOffset: 4
; Occupancy: 8
; WaveLimiterHint : 0
; COMPUTE_PGM_RSRC2:SCRATCH_EN: 0
; COMPUTE_PGM_RSRC2:USER_SGPR: 6
; COMPUTE_PGM_RSRC2:TRAP_HANDLER: 0
; COMPUTE_PGM_RSRC2:TGID_X_EN: 1
; COMPUTE_PGM_RSRC2:TGID_Y_EN: 0
; COMPUTE_PGM_RSRC2:TGID_Z_EN: 0
; COMPUTE_PGM_RSRC2:TIDIG_COMP_CNT: 0
; COMPUTE_PGM_RSRC3_GFX90A:ACCUM_OFFSET: 0
; COMPUTE_PGM_RSRC3_GFX90A:TG_SPLIT: 0
	.section	.text._Z21device_test_warp_maskILj35EEvP10TestStatus,"axG",@progbits,_Z21device_test_warp_maskILj35EEvP10TestStatus,comdat
	.protected	_Z21device_test_warp_maskILj35EEvP10TestStatus ; -- Begin function _Z21device_test_warp_maskILj35EEvP10TestStatus
	.globl	_Z21device_test_warp_maskILj35EEvP10TestStatus
	.p2align	8
	.type	_Z21device_test_warp_maskILj35EEvP10TestStatus,@function
_Z21device_test_warp_maskILj35EEvP10TestStatus: ; @_Z21device_test_warp_maskILj35EEvP10TestStatus
; %bb.0:
	s_load_dwordx2 s[0:1], s[4:5], 0x0
	v_mov_b32_e32 v1, 1
	s_waitcnt lgkmcnt(0)
	global_store_byte v0, v1, s[0:1]
	s_endpgm
	.section	.rodata,"a",@progbits
	.p2align	6, 0x0
	.amdhsa_kernel _Z21device_test_warp_maskILj35EEvP10TestStatus
		.amdhsa_group_segment_fixed_size 0
		.amdhsa_private_segment_fixed_size 0
		.amdhsa_kernarg_size 8
		.amdhsa_user_sgpr_count 6
		.amdhsa_user_sgpr_private_segment_buffer 1
		.amdhsa_user_sgpr_dispatch_ptr 0
		.amdhsa_user_sgpr_queue_ptr 0
		.amdhsa_user_sgpr_kernarg_segment_ptr 1
		.amdhsa_user_sgpr_dispatch_id 0
		.amdhsa_user_sgpr_flat_scratch_init 0
		.amdhsa_user_sgpr_kernarg_preload_length 0
		.amdhsa_user_sgpr_kernarg_preload_offset 0
		.amdhsa_user_sgpr_private_segment_size 0
		.amdhsa_uses_dynamic_stack 0
		.amdhsa_system_sgpr_private_segment_wavefront_offset 0
		.amdhsa_system_sgpr_workgroup_id_x 1
		.amdhsa_system_sgpr_workgroup_id_y 0
		.amdhsa_system_sgpr_workgroup_id_z 0
		.amdhsa_system_sgpr_workgroup_info 0
		.amdhsa_system_vgpr_workitem_id 0
		.amdhsa_next_free_vgpr 2
		.amdhsa_next_free_sgpr 6
		.amdhsa_accum_offset 4
		.amdhsa_reserve_vcc 0
		.amdhsa_reserve_flat_scratch 0
		.amdhsa_float_round_mode_32 0
		.amdhsa_float_round_mode_16_64 0
		.amdhsa_float_denorm_mode_32 3
		.amdhsa_float_denorm_mode_16_64 3
		.amdhsa_dx10_clamp 1
		.amdhsa_ieee_mode 1
		.amdhsa_fp16_overflow 0
		.amdhsa_tg_split 0
		.amdhsa_exception_fp_ieee_invalid_op 0
		.amdhsa_exception_fp_denorm_src 0
		.amdhsa_exception_fp_ieee_div_zero 0
		.amdhsa_exception_fp_ieee_overflow 0
		.amdhsa_exception_fp_ieee_underflow 0
		.amdhsa_exception_fp_ieee_inexact 0
		.amdhsa_exception_int_div_zero 0
	.end_amdhsa_kernel
	.section	.text._Z21device_test_warp_maskILj35EEvP10TestStatus,"axG",@progbits,_Z21device_test_warp_maskILj35EEvP10TestStatus,comdat
.Lfunc_end84:
	.size	_Z21device_test_warp_maskILj35EEvP10TestStatus, .Lfunc_end84-_Z21device_test_warp_maskILj35EEvP10TestStatus
                                        ; -- End function
	.section	.AMDGPU.csdata,"",@progbits
; Kernel info:
; codeLenInByte = 28
; NumSgprs: 10
; NumVgprs: 2
; NumAgprs: 0
; TotalNumVgprs: 2
; ScratchSize: 0
; MemoryBound: 0
; FloatMode: 240
; IeeeMode: 1
; LDSByteSize: 0 bytes/workgroup (compile time only)
; SGPRBlocks: 1
; VGPRBlocks: 0
; NumSGPRsForWavesPerEU: 10
; NumVGPRsForWavesPerEU: 2
; AccumOffset: 4
; Occupancy: 8
; WaveLimiterHint : 0
; COMPUTE_PGM_RSRC2:SCRATCH_EN: 0
; COMPUTE_PGM_RSRC2:USER_SGPR: 6
; COMPUTE_PGM_RSRC2:TRAP_HANDLER: 0
; COMPUTE_PGM_RSRC2:TGID_X_EN: 1
; COMPUTE_PGM_RSRC2:TGID_Y_EN: 0
; COMPUTE_PGM_RSRC2:TGID_Z_EN: 0
; COMPUTE_PGM_RSRC2:TIDIG_COMP_CNT: 0
; COMPUTE_PGM_RSRC3_GFX90A:ACCUM_OFFSET: 0
; COMPUTE_PGM_RSRC3_GFX90A:TG_SPLIT: 0
	.section	.text._Z21device_test_warp_maskILj36EEvP10TestStatus,"axG",@progbits,_Z21device_test_warp_maskILj36EEvP10TestStatus,comdat
	.protected	_Z21device_test_warp_maskILj36EEvP10TestStatus ; -- Begin function _Z21device_test_warp_maskILj36EEvP10TestStatus
	.globl	_Z21device_test_warp_maskILj36EEvP10TestStatus
	.p2align	8
	.type	_Z21device_test_warp_maskILj36EEvP10TestStatus,@function
_Z21device_test_warp_maskILj36EEvP10TestStatus: ; @_Z21device_test_warp_maskILj36EEvP10TestStatus
; %bb.0:
	s_load_dwordx2 s[0:1], s[4:5], 0x0
	v_mov_b32_e32 v1, 1
	s_waitcnt lgkmcnt(0)
	global_store_byte v0, v1, s[0:1]
	s_endpgm
	.section	.rodata,"a",@progbits
	.p2align	6, 0x0
	.amdhsa_kernel _Z21device_test_warp_maskILj36EEvP10TestStatus
		.amdhsa_group_segment_fixed_size 0
		.amdhsa_private_segment_fixed_size 0
		.amdhsa_kernarg_size 8
		.amdhsa_user_sgpr_count 6
		.amdhsa_user_sgpr_private_segment_buffer 1
		.amdhsa_user_sgpr_dispatch_ptr 0
		.amdhsa_user_sgpr_queue_ptr 0
		.amdhsa_user_sgpr_kernarg_segment_ptr 1
		.amdhsa_user_sgpr_dispatch_id 0
		.amdhsa_user_sgpr_flat_scratch_init 0
		.amdhsa_user_sgpr_kernarg_preload_length 0
		.amdhsa_user_sgpr_kernarg_preload_offset 0
		.amdhsa_user_sgpr_private_segment_size 0
		.amdhsa_uses_dynamic_stack 0
		.amdhsa_system_sgpr_private_segment_wavefront_offset 0
		.amdhsa_system_sgpr_workgroup_id_x 1
		.amdhsa_system_sgpr_workgroup_id_y 0
		.amdhsa_system_sgpr_workgroup_id_z 0
		.amdhsa_system_sgpr_workgroup_info 0
		.amdhsa_system_vgpr_workitem_id 0
		.amdhsa_next_free_vgpr 2
		.amdhsa_next_free_sgpr 6
		.amdhsa_accum_offset 4
		.amdhsa_reserve_vcc 0
		.amdhsa_reserve_flat_scratch 0
		.amdhsa_float_round_mode_32 0
		.amdhsa_float_round_mode_16_64 0
		.amdhsa_float_denorm_mode_32 3
		.amdhsa_float_denorm_mode_16_64 3
		.amdhsa_dx10_clamp 1
		.amdhsa_ieee_mode 1
		.amdhsa_fp16_overflow 0
		.amdhsa_tg_split 0
		.amdhsa_exception_fp_ieee_invalid_op 0
		.amdhsa_exception_fp_denorm_src 0
		.amdhsa_exception_fp_ieee_div_zero 0
		.amdhsa_exception_fp_ieee_overflow 0
		.amdhsa_exception_fp_ieee_underflow 0
		.amdhsa_exception_fp_ieee_inexact 0
		.amdhsa_exception_int_div_zero 0
	.end_amdhsa_kernel
	.section	.text._Z21device_test_warp_maskILj36EEvP10TestStatus,"axG",@progbits,_Z21device_test_warp_maskILj36EEvP10TestStatus,comdat
.Lfunc_end85:
	.size	_Z21device_test_warp_maskILj36EEvP10TestStatus, .Lfunc_end85-_Z21device_test_warp_maskILj36EEvP10TestStatus
                                        ; -- End function
	.section	.AMDGPU.csdata,"",@progbits
; Kernel info:
; codeLenInByte = 28
; NumSgprs: 10
; NumVgprs: 2
; NumAgprs: 0
; TotalNumVgprs: 2
; ScratchSize: 0
; MemoryBound: 0
; FloatMode: 240
; IeeeMode: 1
; LDSByteSize: 0 bytes/workgroup (compile time only)
; SGPRBlocks: 1
; VGPRBlocks: 0
; NumSGPRsForWavesPerEU: 10
; NumVGPRsForWavesPerEU: 2
; AccumOffset: 4
; Occupancy: 8
; WaveLimiterHint : 0
; COMPUTE_PGM_RSRC2:SCRATCH_EN: 0
; COMPUTE_PGM_RSRC2:USER_SGPR: 6
; COMPUTE_PGM_RSRC2:TRAP_HANDLER: 0
; COMPUTE_PGM_RSRC2:TGID_X_EN: 1
; COMPUTE_PGM_RSRC2:TGID_Y_EN: 0
; COMPUTE_PGM_RSRC2:TGID_Z_EN: 0
; COMPUTE_PGM_RSRC2:TIDIG_COMP_CNT: 0
; COMPUTE_PGM_RSRC3_GFX90A:ACCUM_OFFSET: 0
; COMPUTE_PGM_RSRC3_GFX90A:TG_SPLIT: 0
	.section	.text._Z21device_test_warp_maskILj37EEvP10TestStatus,"axG",@progbits,_Z21device_test_warp_maskILj37EEvP10TestStatus,comdat
	.protected	_Z21device_test_warp_maskILj37EEvP10TestStatus ; -- Begin function _Z21device_test_warp_maskILj37EEvP10TestStatus
	.globl	_Z21device_test_warp_maskILj37EEvP10TestStatus
	.p2align	8
	.type	_Z21device_test_warp_maskILj37EEvP10TestStatus,@function
_Z21device_test_warp_maskILj37EEvP10TestStatus: ; @_Z21device_test_warp_maskILj37EEvP10TestStatus
; %bb.0:
	s_load_dwordx2 s[0:1], s[4:5], 0x0
	v_mov_b32_e32 v1, 1
	s_waitcnt lgkmcnt(0)
	global_store_byte v0, v1, s[0:1]
	s_endpgm
	.section	.rodata,"a",@progbits
	.p2align	6, 0x0
	.amdhsa_kernel _Z21device_test_warp_maskILj37EEvP10TestStatus
		.amdhsa_group_segment_fixed_size 0
		.amdhsa_private_segment_fixed_size 0
		.amdhsa_kernarg_size 8
		.amdhsa_user_sgpr_count 6
		.amdhsa_user_sgpr_private_segment_buffer 1
		.amdhsa_user_sgpr_dispatch_ptr 0
		.amdhsa_user_sgpr_queue_ptr 0
		.amdhsa_user_sgpr_kernarg_segment_ptr 1
		.amdhsa_user_sgpr_dispatch_id 0
		.amdhsa_user_sgpr_flat_scratch_init 0
		.amdhsa_user_sgpr_kernarg_preload_length 0
		.amdhsa_user_sgpr_kernarg_preload_offset 0
		.amdhsa_user_sgpr_private_segment_size 0
		.amdhsa_uses_dynamic_stack 0
		.amdhsa_system_sgpr_private_segment_wavefront_offset 0
		.amdhsa_system_sgpr_workgroup_id_x 1
		.amdhsa_system_sgpr_workgroup_id_y 0
		.amdhsa_system_sgpr_workgroup_id_z 0
		.amdhsa_system_sgpr_workgroup_info 0
		.amdhsa_system_vgpr_workitem_id 0
		.amdhsa_next_free_vgpr 2
		.amdhsa_next_free_sgpr 6
		.amdhsa_accum_offset 4
		.amdhsa_reserve_vcc 0
		.amdhsa_reserve_flat_scratch 0
		.amdhsa_float_round_mode_32 0
		.amdhsa_float_round_mode_16_64 0
		.amdhsa_float_denorm_mode_32 3
		.amdhsa_float_denorm_mode_16_64 3
		.amdhsa_dx10_clamp 1
		.amdhsa_ieee_mode 1
		.amdhsa_fp16_overflow 0
		.amdhsa_tg_split 0
		.amdhsa_exception_fp_ieee_invalid_op 0
		.amdhsa_exception_fp_denorm_src 0
		.amdhsa_exception_fp_ieee_div_zero 0
		.amdhsa_exception_fp_ieee_overflow 0
		.amdhsa_exception_fp_ieee_underflow 0
		.amdhsa_exception_fp_ieee_inexact 0
		.amdhsa_exception_int_div_zero 0
	.end_amdhsa_kernel
	.section	.text._Z21device_test_warp_maskILj37EEvP10TestStatus,"axG",@progbits,_Z21device_test_warp_maskILj37EEvP10TestStatus,comdat
.Lfunc_end86:
	.size	_Z21device_test_warp_maskILj37EEvP10TestStatus, .Lfunc_end86-_Z21device_test_warp_maskILj37EEvP10TestStatus
                                        ; -- End function
	.section	.AMDGPU.csdata,"",@progbits
; Kernel info:
; codeLenInByte = 28
; NumSgprs: 10
; NumVgprs: 2
; NumAgprs: 0
; TotalNumVgprs: 2
; ScratchSize: 0
; MemoryBound: 0
; FloatMode: 240
; IeeeMode: 1
; LDSByteSize: 0 bytes/workgroup (compile time only)
; SGPRBlocks: 1
; VGPRBlocks: 0
; NumSGPRsForWavesPerEU: 10
; NumVGPRsForWavesPerEU: 2
; AccumOffset: 4
; Occupancy: 8
; WaveLimiterHint : 0
; COMPUTE_PGM_RSRC2:SCRATCH_EN: 0
; COMPUTE_PGM_RSRC2:USER_SGPR: 6
; COMPUTE_PGM_RSRC2:TRAP_HANDLER: 0
; COMPUTE_PGM_RSRC2:TGID_X_EN: 1
; COMPUTE_PGM_RSRC2:TGID_Y_EN: 0
; COMPUTE_PGM_RSRC2:TGID_Z_EN: 0
; COMPUTE_PGM_RSRC2:TIDIG_COMP_CNT: 0
; COMPUTE_PGM_RSRC3_GFX90A:ACCUM_OFFSET: 0
; COMPUTE_PGM_RSRC3_GFX90A:TG_SPLIT: 0
	.section	.text._Z21device_test_warp_maskILj38EEvP10TestStatus,"axG",@progbits,_Z21device_test_warp_maskILj38EEvP10TestStatus,comdat
	.protected	_Z21device_test_warp_maskILj38EEvP10TestStatus ; -- Begin function _Z21device_test_warp_maskILj38EEvP10TestStatus
	.globl	_Z21device_test_warp_maskILj38EEvP10TestStatus
	.p2align	8
	.type	_Z21device_test_warp_maskILj38EEvP10TestStatus,@function
_Z21device_test_warp_maskILj38EEvP10TestStatus: ; @_Z21device_test_warp_maskILj38EEvP10TestStatus
; %bb.0:
	s_load_dwordx2 s[0:1], s[4:5], 0x0
	v_mov_b32_e32 v1, 1
	s_waitcnt lgkmcnt(0)
	global_store_byte v0, v1, s[0:1]
	s_endpgm
	.section	.rodata,"a",@progbits
	.p2align	6, 0x0
	.amdhsa_kernel _Z21device_test_warp_maskILj38EEvP10TestStatus
		.amdhsa_group_segment_fixed_size 0
		.amdhsa_private_segment_fixed_size 0
		.amdhsa_kernarg_size 8
		.amdhsa_user_sgpr_count 6
		.amdhsa_user_sgpr_private_segment_buffer 1
		.amdhsa_user_sgpr_dispatch_ptr 0
		.amdhsa_user_sgpr_queue_ptr 0
		.amdhsa_user_sgpr_kernarg_segment_ptr 1
		.amdhsa_user_sgpr_dispatch_id 0
		.amdhsa_user_sgpr_flat_scratch_init 0
		.amdhsa_user_sgpr_kernarg_preload_length 0
		.amdhsa_user_sgpr_kernarg_preload_offset 0
		.amdhsa_user_sgpr_private_segment_size 0
		.amdhsa_uses_dynamic_stack 0
		.amdhsa_system_sgpr_private_segment_wavefront_offset 0
		.amdhsa_system_sgpr_workgroup_id_x 1
		.amdhsa_system_sgpr_workgroup_id_y 0
		.amdhsa_system_sgpr_workgroup_id_z 0
		.amdhsa_system_sgpr_workgroup_info 0
		.amdhsa_system_vgpr_workitem_id 0
		.amdhsa_next_free_vgpr 2
		.amdhsa_next_free_sgpr 6
		.amdhsa_accum_offset 4
		.amdhsa_reserve_vcc 0
		.amdhsa_reserve_flat_scratch 0
		.amdhsa_float_round_mode_32 0
		.amdhsa_float_round_mode_16_64 0
		.amdhsa_float_denorm_mode_32 3
		.amdhsa_float_denorm_mode_16_64 3
		.amdhsa_dx10_clamp 1
		.amdhsa_ieee_mode 1
		.amdhsa_fp16_overflow 0
		.amdhsa_tg_split 0
		.amdhsa_exception_fp_ieee_invalid_op 0
		.amdhsa_exception_fp_denorm_src 0
		.amdhsa_exception_fp_ieee_div_zero 0
		.amdhsa_exception_fp_ieee_overflow 0
		.amdhsa_exception_fp_ieee_underflow 0
		.amdhsa_exception_fp_ieee_inexact 0
		.amdhsa_exception_int_div_zero 0
	.end_amdhsa_kernel
	.section	.text._Z21device_test_warp_maskILj38EEvP10TestStatus,"axG",@progbits,_Z21device_test_warp_maskILj38EEvP10TestStatus,comdat
.Lfunc_end87:
	.size	_Z21device_test_warp_maskILj38EEvP10TestStatus, .Lfunc_end87-_Z21device_test_warp_maskILj38EEvP10TestStatus
                                        ; -- End function
	.section	.AMDGPU.csdata,"",@progbits
; Kernel info:
; codeLenInByte = 28
; NumSgprs: 10
; NumVgprs: 2
; NumAgprs: 0
; TotalNumVgprs: 2
; ScratchSize: 0
; MemoryBound: 0
; FloatMode: 240
; IeeeMode: 1
; LDSByteSize: 0 bytes/workgroup (compile time only)
; SGPRBlocks: 1
; VGPRBlocks: 0
; NumSGPRsForWavesPerEU: 10
; NumVGPRsForWavesPerEU: 2
; AccumOffset: 4
; Occupancy: 8
; WaveLimiterHint : 0
; COMPUTE_PGM_RSRC2:SCRATCH_EN: 0
; COMPUTE_PGM_RSRC2:USER_SGPR: 6
; COMPUTE_PGM_RSRC2:TRAP_HANDLER: 0
; COMPUTE_PGM_RSRC2:TGID_X_EN: 1
; COMPUTE_PGM_RSRC2:TGID_Y_EN: 0
; COMPUTE_PGM_RSRC2:TGID_Z_EN: 0
; COMPUTE_PGM_RSRC2:TIDIG_COMP_CNT: 0
; COMPUTE_PGM_RSRC3_GFX90A:ACCUM_OFFSET: 0
; COMPUTE_PGM_RSRC3_GFX90A:TG_SPLIT: 0
	.section	.text._Z21device_test_warp_maskILj39EEvP10TestStatus,"axG",@progbits,_Z21device_test_warp_maskILj39EEvP10TestStatus,comdat
	.protected	_Z21device_test_warp_maskILj39EEvP10TestStatus ; -- Begin function _Z21device_test_warp_maskILj39EEvP10TestStatus
	.globl	_Z21device_test_warp_maskILj39EEvP10TestStatus
	.p2align	8
	.type	_Z21device_test_warp_maskILj39EEvP10TestStatus,@function
_Z21device_test_warp_maskILj39EEvP10TestStatus: ; @_Z21device_test_warp_maskILj39EEvP10TestStatus
; %bb.0:
	s_load_dwordx2 s[0:1], s[4:5], 0x0
	v_mov_b32_e32 v1, 1
	s_waitcnt lgkmcnt(0)
	global_store_byte v0, v1, s[0:1]
	s_endpgm
	.section	.rodata,"a",@progbits
	.p2align	6, 0x0
	.amdhsa_kernel _Z21device_test_warp_maskILj39EEvP10TestStatus
		.amdhsa_group_segment_fixed_size 0
		.amdhsa_private_segment_fixed_size 0
		.amdhsa_kernarg_size 8
		.amdhsa_user_sgpr_count 6
		.amdhsa_user_sgpr_private_segment_buffer 1
		.amdhsa_user_sgpr_dispatch_ptr 0
		.amdhsa_user_sgpr_queue_ptr 0
		.amdhsa_user_sgpr_kernarg_segment_ptr 1
		.amdhsa_user_sgpr_dispatch_id 0
		.amdhsa_user_sgpr_flat_scratch_init 0
		.amdhsa_user_sgpr_kernarg_preload_length 0
		.amdhsa_user_sgpr_kernarg_preload_offset 0
		.amdhsa_user_sgpr_private_segment_size 0
		.amdhsa_uses_dynamic_stack 0
		.amdhsa_system_sgpr_private_segment_wavefront_offset 0
		.amdhsa_system_sgpr_workgroup_id_x 1
		.amdhsa_system_sgpr_workgroup_id_y 0
		.amdhsa_system_sgpr_workgroup_id_z 0
		.amdhsa_system_sgpr_workgroup_info 0
		.amdhsa_system_vgpr_workitem_id 0
		.amdhsa_next_free_vgpr 2
		.amdhsa_next_free_sgpr 6
		.amdhsa_accum_offset 4
		.amdhsa_reserve_vcc 0
		.amdhsa_reserve_flat_scratch 0
		.amdhsa_float_round_mode_32 0
		.amdhsa_float_round_mode_16_64 0
		.amdhsa_float_denorm_mode_32 3
		.amdhsa_float_denorm_mode_16_64 3
		.amdhsa_dx10_clamp 1
		.amdhsa_ieee_mode 1
		.amdhsa_fp16_overflow 0
		.amdhsa_tg_split 0
		.amdhsa_exception_fp_ieee_invalid_op 0
		.amdhsa_exception_fp_denorm_src 0
		.amdhsa_exception_fp_ieee_div_zero 0
		.amdhsa_exception_fp_ieee_overflow 0
		.amdhsa_exception_fp_ieee_underflow 0
		.amdhsa_exception_fp_ieee_inexact 0
		.amdhsa_exception_int_div_zero 0
	.end_amdhsa_kernel
	.section	.text._Z21device_test_warp_maskILj39EEvP10TestStatus,"axG",@progbits,_Z21device_test_warp_maskILj39EEvP10TestStatus,comdat
.Lfunc_end88:
	.size	_Z21device_test_warp_maskILj39EEvP10TestStatus, .Lfunc_end88-_Z21device_test_warp_maskILj39EEvP10TestStatus
                                        ; -- End function
	.section	.AMDGPU.csdata,"",@progbits
; Kernel info:
; codeLenInByte = 28
; NumSgprs: 10
; NumVgprs: 2
; NumAgprs: 0
; TotalNumVgprs: 2
; ScratchSize: 0
; MemoryBound: 0
; FloatMode: 240
; IeeeMode: 1
; LDSByteSize: 0 bytes/workgroup (compile time only)
; SGPRBlocks: 1
; VGPRBlocks: 0
; NumSGPRsForWavesPerEU: 10
; NumVGPRsForWavesPerEU: 2
; AccumOffset: 4
; Occupancy: 8
; WaveLimiterHint : 0
; COMPUTE_PGM_RSRC2:SCRATCH_EN: 0
; COMPUTE_PGM_RSRC2:USER_SGPR: 6
; COMPUTE_PGM_RSRC2:TRAP_HANDLER: 0
; COMPUTE_PGM_RSRC2:TGID_X_EN: 1
; COMPUTE_PGM_RSRC2:TGID_Y_EN: 0
; COMPUTE_PGM_RSRC2:TGID_Z_EN: 0
; COMPUTE_PGM_RSRC2:TIDIG_COMP_CNT: 0
; COMPUTE_PGM_RSRC3_GFX90A:ACCUM_OFFSET: 0
; COMPUTE_PGM_RSRC3_GFX90A:TG_SPLIT: 0
	.section	.text._Z21device_test_warp_maskILj40EEvP10TestStatus,"axG",@progbits,_Z21device_test_warp_maskILj40EEvP10TestStatus,comdat
	.protected	_Z21device_test_warp_maskILj40EEvP10TestStatus ; -- Begin function _Z21device_test_warp_maskILj40EEvP10TestStatus
	.globl	_Z21device_test_warp_maskILj40EEvP10TestStatus
	.p2align	8
	.type	_Z21device_test_warp_maskILj40EEvP10TestStatus,@function
_Z21device_test_warp_maskILj40EEvP10TestStatus: ; @_Z21device_test_warp_maskILj40EEvP10TestStatus
; %bb.0:
	s_load_dwordx2 s[0:1], s[4:5], 0x0
	v_mov_b32_e32 v1, 1
	s_waitcnt lgkmcnt(0)
	global_store_byte v0, v1, s[0:1]
	s_endpgm
	.section	.rodata,"a",@progbits
	.p2align	6, 0x0
	.amdhsa_kernel _Z21device_test_warp_maskILj40EEvP10TestStatus
		.amdhsa_group_segment_fixed_size 0
		.amdhsa_private_segment_fixed_size 0
		.amdhsa_kernarg_size 8
		.amdhsa_user_sgpr_count 6
		.amdhsa_user_sgpr_private_segment_buffer 1
		.amdhsa_user_sgpr_dispatch_ptr 0
		.amdhsa_user_sgpr_queue_ptr 0
		.amdhsa_user_sgpr_kernarg_segment_ptr 1
		.amdhsa_user_sgpr_dispatch_id 0
		.amdhsa_user_sgpr_flat_scratch_init 0
		.amdhsa_user_sgpr_kernarg_preload_length 0
		.amdhsa_user_sgpr_kernarg_preload_offset 0
		.amdhsa_user_sgpr_private_segment_size 0
		.amdhsa_uses_dynamic_stack 0
		.amdhsa_system_sgpr_private_segment_wavefront_offset 0
		.amdhsa_system_sgpr_workgroup_id_x 1
		.amdhsa_system_sgpr_workgroup_id_y 0
		.amdhsa_system_sgpr_workgroup_id_z 0
		.amdhsa_system_sgpr_workgroup_info 0
		.amdhsa_system_vgpr_workitem_id 0
		.amdhsa_next_free_vgpr 2
		.amdhsa_next_free_sgpr 6
		.amdhsa_accum_offset 4
		.amdhsa_reserve_vcc 0
		.amdhsa_reserve_flat_scratch 0
		.amdhsa_float_round_mode_32 0
		.amdhsa_float_round_mode_16_64 0
		.amdhsa_float_denorm_mode_32 3
		.amdhsa_float_denorm_mode_16_64 3
		.amdhsa_dx10_clamp 1
		.amdhsa_ieee_mode 1
		.amdhsa_fp16_overflow 0
		.amdhsa_tg_split 0
		.amdhsa_exception_fp_ieee_invalid_op 0
		.amdhsa_exception_fp_denorm_src 0
		.amdhsa_exception_fp_ieee_div_zero 0
		.amdhsa_exception_fp_ieee_overflow 0
		.amdhsa_exception_fp_ieee_underflow 0
		.amdhsa_exception_fp_ieee_inexact 0
		.amdhsa_exception_int_div_zero 0
	.end_amdhsa_kernel
	.section	.text._Z21device_test_warp_maskILj40EEvP10TestStatus,"axG",@progbits,_Z21device_test_warp_maskILj40EEvP10TestStatus,comdat
.Lfunc_end89:
	.size	_Z21device_test_warp_maskILj40EEvP10TestStatus, .Lfunc_end89-_Z21device_test_warp_maskILj40EEvP10TestStatus
                                        ; -- End function
	.section	.AMDGPU.csdata,"",@progbits
; Kernel info:
; codeLenInByte = 28
; NumSgprs: 10
; NumVgprs: 2
; NumAgprs: 0
; TotalNumVgprs: 2
; ScratchSize: 0
; MemoryBound: 0
; FloatMode: 240
; IeeeMode: 1
; LDSByteSize: 0 bytes/workgroup (compile time only)
; SGPRBlocks: 1
; VGPRBlocks: 0
; NumSGPRsForWavesPerEU: 10
; NumVGPRsForWavesPerEU: 2
; AccumOffset: 4
; Occupancy: 8
; WaveLimiterHint : 0
; COMPUTE_PGM_RSRC2:SCRATCH_EN: 0
; COMPUTE_PGM_RSRC2:USER_SGPR: 6
; COMPUTE_PGM_RSRC2:TRAP_HANDLER: 0
; COMPUTE_PGM_RSRC2:TGID_X_EN: 1
; COMPUTE_PGM_RSRC2:TGID_Y_EN: 0
; COMPUTE_PGM_RSRC2:TGID_Z_EN: 0
; COMPUTE_PGM_RSRC2:TIDIG_COMP_CNT: 0
; COMPUTE_PGM_RSRC3_GFX90A:ACCUM_OFFSET: 0
; COMPUTE_PGM_RSRC3_GFX90A:TG_SPLIT: 0
	.section	.text._Z21device_test_warp_maskILj41EEvP10TestStatus,"axG",@progbits,_Z21device_test_warp_maskILj41EEvP10TestStatus,comdat
	.protected	_Z21device_test_warp_maskILj41EEvP10TestStatus ; -- Begin function _Z21device_test_warp_maskILj41EEvP10TestStatus
	.globl	_Z21device_test_warp_maskILj41EEvP10TestStatus
	.p2align	8
	.type	_Z21device_test_warp_maskILj41EEvP10TestStatus,@function
_Z21device_test_warp_maskILj41EEvP10TestStatus: ; @_Z21device_test_warp_maskILj41EEvP10TestStatus
; %bb.0:
	s_load_dwordx2 s[0:1], s[4:5], 0x0
	v_mov_b32_e32 v1, 1
	s_waitcnt lgkmcnt(0)
	global_store_byte v0, v1, s[0:1]
	s_endpgm
	.section	.rodata,"a",@progbits
	.p2align	6, 0x0
	.amdhsa_kernel _Z21device_test_warp_maskILj41EEvP10TestStatus
		.amdhsa_group_segment_fixed_size 0
		.amdhsa_private_segment_fixed_size 0
		.amdhsa_kernarg_size 8
		.amdhsa_user_sgpr_count 6
		.amdhsa_user_sgpr_private_segment_buffer 1
		.amdhsa_user_sgpr_dispatch_ptr 0
		.amdhsa_user_sgpr_queue_ptr 0
		.amdhsa_user_sgpr_kernarg_segment_ptr 1
		.amdhsa_user_sgpr_dispatch_id 0
		.amdhsa_user_sgpr_flat_scratch_init 0
		.amdhsa_user_sgpr_kernarg_preload_length 0
		.amdhsa_user_sgpr_kernarg_preload_offset 0
		.amdhsa_user_sgpr_private_segment_size 0
		.amdhsa_uses_dynamic_stack 0
		.amdhsa_system_sgpr_private_segment_wavefront_offset 0
		.amdhsa_system_sgpr_workgroup_id_x 1
		.amdhsa_system_sgpr_workgroup_id_y 0
		.amdhsa_system_sgpr_workgroup_id_z 0
		.amdhsa_system_sgpr_workgroup_info 0
		.amdhsa_system_vgpr_workitem_id 0
		.amdhsa_next_free_vgpr 2
		.amdhsa_next_free_sgpr 6
		.amdhsa_accum_offset 4
		.amdhsa_reserve_vcc 0
		.amdhsa_reserve_flat_scratch 0
		.amdhsa_float_round_mode_32 0
		.amdhsa_float_round_mode_16_64 0
		.amdhsa_float_denorm_mode_32 3
		.amdhsa_float_denorm_mode_16_64 3
		.amdhsa_dx10_clamp 1
		.amdhsa_ieee_mode 1
		.amdhsa_fp16_overflow 0
		.amdhsa_tg_split 0
		.amdhsa_exception_fp_ieee_invalid_op 0
		.amdhsa_exception_fp_denorm_src 0
		.amdhsa_exception_fp_ieee_div_zero 0
		.amdhsa_exception_fp_ieee_overflow 0
		.amdhsa_exception_fp_ieee_underflow 0
		.amdhsa_exception_fp_ieee_inexact 0
		.amdhsa_exception_int_div_zero 0
	.end_amdhsa_kernel
	.section	.text._Z21device_test_warp_maskILj41EEvP10TestStatus,"axG",@progbits,_Z21device_test_warp_maskILj41EEvP10TestStatus,comdat
.Lfunc_end90:
	.size	_Z21device_test_warp_maskILj41EEvP10TestStatus, .Lfunc_end90-_Z21device_test_warp_maskILj41EEvP10TestStatus
                                        ; -- End function
	.section	.AMDGPU.csdata,"",@progbits
; Kernel info:
; codeLenInByte = 28
; NumSgprs: 10
; NumVgprs: 2
; NumAgprs: 0
; TotalNumVgprs: 2
; ScratchSize: 0
; MemoryBound: 0
; FloatMode: 240
; IeeeMode: 1
; LDSByteSize: 0 bytes/workgroup (compile time only)
; SGPRBlocks: 1
; VGPRBlocks: 0
; NumSGPRsForWavesPerEU: 10
; NumVGPRsForWavesPerEU: 2
; AccumOffset: 4
; Occupancy: 8
; WaveLimiterHint : 0
; COMPUTE_PGM_RSRC2:SCRATCH_EN: 0
; COMPUTE_PGM_RSRC2:USER_SGPR: 6
; COMPUTE_PGM_RSRC2:TRAP_HANDLER: 0
; COMPUTE_PGM_RSRC2:TGID_X_EN: 1
; COMPUTE_PGM_RSRC2:TGID_Y_EN: 0
; COMPUTE_PGM_RSRC2:TGID_Z_EN: 0
; COMPUTE_PGM_RSRC2:TIDIG_COMP_CNT: 0
; COMPUTE_PGM_RSRC3_GFX90A:ACCUM_OFFSET: 0
; COMPUTE_PGM_RSRC3_GFX90A:TG_SPLIT: 0
	.section	.text._Z21device_test_warp_maskILj42EEvP10TestStatus,"axG",@progbits,_Z21device_test_warp_maskILj42EEvP10TestStatus,comdat
	.protected	_Z21device_test_warp_maskILj42EEvP10TestStatus ; -- Begin function _Z21device_test_warp_maskILj42EEvP10TestStatus
	.globl	_Z21device_test_warp_maskILj42EEvP10TestStatus
	.p2align	8
	.type	_Z21device_test_warp_maskILj42EEvP10TestStatus,@function
_Z21device_test_warp_maskILj42EEvP10TestStatus: ; @_Z21device_test_warp_maskILj42EEvP10TestStatus
; %bb.0:
	s_load_dwordx2 s[0:1], s[4:5], 0x0
	v_mov_b32_e32 v1, 1
	s_waitcnt lgkmcnt(0)
	global_store_byte v0, v1, s[0:1]
	s_endpgm
	.section	.rodata,"a",@progbits
	.p2align	6, 0x0
	.amdhsa_kernel _Z21device_test_warp_maskILj42EEvP10TestStatus
		.amdhsa_group_segment_fixed_size 0
		.amdhsa_private_segment_fixed_size 0
		.amdhsa_kernarg_size 8
		.amdhsa_user_sgpr_count 6
		.amdhsa_user_sgpr_private_segment_buffer 1
		.amdhsa_user_sgpr_dispatch_ptr 0
		.amdhsa_user_sgpr_queue_ptr 0
		.amdhsa_user_sgpr_kernarg_segment_ptr 1
		.amdhsa_user_sgpr_dispatch_id 0
		.amdhsa_user_sgpr_flat_scratch_init 0
		.amdhsa_user_sgpr_kernarg_preload_length 0
		.amdhsa_user_sgpr_kernarg_preload_offset 0
		.amdhsa_user_sgpr_private_segment_size 0
		.amdhsa_uses_dynamic_stack 0
		.amdhsa_system_sgpr_private_segment_wavefront_offset 0
		.amdhsa_system_sgpr_workgroup_id_x 1
		.amdhsa_system_sgpr_workgroup_id_y 0
		.amdhsa_system_sgpr_workgroup_id_z 0
		.amdhsa_system_sgpr_workgroup_info 0
		.amdhsa_system_vgpr_workitem_id 0
		.amdhsa_next_free_vgpr 2
		.amdhsa_next_free_sgpr 6
		.amdhsa_accum_offset 4
		.amdhsa_reserve_vcc 0
		.amdhsa_reserve_flat_scratch 0
		.amdhsa_float_round_mode_32 0
		.amdhsa_float_round_mode_16_64 0
		.amdhsa_float_denorm_mode_32 3
		.amdhsa_float_denorm_mode_16_64 3
		.amdhsa_dx10_clamp 1
		.amdhsa_ieee_mode 1
		.amdhsa_fp16_overflow 0
		.amdhsa_tg_split 0
		.amdhsa_exception_fp_ieee_invalid_op 0
		.amdhsa_exception_fp_denorm_src 0
		.amdhsa_exception_fp_ieee_div_zero 0
		.amdhsa_exception_fp_ieee_overflow 0
		.amdhsa_exception_fp_ieee_underflow 0
		.amdhsa_exception_fp_ieee_inexact 0
		.amdhsa_exception_int_div_zero 0
	.end_amdhsa_kernel
	.section	.text._Z21device_test_warp_maskILj42EEvP10TestStatus,"axG",@progbits,_Z21device_test_warp_maskILj42EEvP10TestStatus,comdat
.Lfunc_end91:
	.size	_Z21device_test_warp_maskILj42EEvP10TestStatus, .Lfunc_end91-_Z21device_test_warp_maskILj42EEvP10TestStatus
                                        ; -- End function
	.section	.AMDGPU.csdata,"",@progbits
; Kernel info:
; codeLenInByte = 28
; NumSgprs: 10
; NumVgprs: 2
; NumAgprs: 0
; TotalNumVgprs: 2
; ScratchSize: 0
; MemoryBound: 0
; FloatMode: 240
; IeeeMode: 1
; LDSByteSize: 0 bytes/workgroup (compile time only)
; SGPRBlocks: 1
; VGPRBlocks: 0
; NumSGPRsForWavesPerEU: 10
; NumVGPRsForWavesPerEU: 2
; AccumOffset: 4
; Occupancy: 8
; WaveLimiterHint : 0
; COMPUTE_PGM_RSRC2:SCRATCH_EN: 0
; COMPUTE_PGM_RSRC2:USER_SGPR: 6
; COMPUTE_PGM_RSRC2:TRAP_HANDLER: 0
; COMPUTE_PGM_RSRC2:TGID_X_EN: 1
; COMPUTE_PGM_RSRC2:TGID_Y_EN: 0
; COMPUTE_PGM_RSRC2:TGID_Z_EN: 0
; COMPUTE_PGM_RSRC2:TIDIG_COMP_CNT: 0
; COMPUTE_PGM_RSRC3_GFX90A:ACCUM_OFFSET: 0
; COMPUTE_PGM_RSRC3_GFX90A:TG_SPLIT: 0
	.section	.text._Z21device_test_warp_maskILj43EEvP10TestStatus,"axG",@progbits,_Z21device_test_warp_maskILj43EEvP10TestStatus,comdat
	.protected	_Z21device_test_warp_maskILj43EEvP10TestStatus ; -- Begin function _Z21device_test_warp_maskILj43EEvP10TestStatus
	.globl	_Z21device_test_warp_maskILj43EEvP10TestStatus
	.p2align	8
	.type	_Z21device_test_warp_maskILj43EEvP10TestStatus,@function
_Z21device_test_warp_maskILj43EEvP10TestStatus: ; @_Z21device_test_warp_maskILj43EEvP10TestStatus
; %bb.0:
	s_load_dwordx2 s[0:1], s[4:5], 0x0
	v_mov_b32_e32 v1, 1
	s_waitcnt lgkmcnt(0)
	global_store_byte v0, v1, s[0:1]
	s_endpgm
	.section	.rodata,"a",@progbits
	.p2align	6, 0x0
	.amdhsa_kernel _Z21device_test_warp_maskILj43EEvP10TestStatus
		.amdhsa_group_segment_fixed_size 0
		.amdhsa_private_segment_fixed_size 0
		.amdhsa_kernarg_size 8
		.amdhsa_user_sgpr_count 6
		.amdhsa_user_sgpr_private_segment_buffer 1
		.amdhsa_user_sgpr_dispatch_ptr 0
		.amdhsa_user_sgpr_queue_ptr 0
		.amdhsa_user_sgpr_kernarg_segment_ptr 1
		.amdhsa_user_sgpr_dispatch_id 0
		.amdhsa_user_sgpr_flat_scratch_init 0
		.amdhsa_user_sgpr_kernarg_preload_length 0
		.amdhsa_user_sgpr_kernarg_preload_offset 0
		.amdhsa_user_sgpr_private_segment_size 0
		.amdhsa_uses_dynamic_stack 0
		.amdhsa_system_sgpr_private_segment_wavefront_offset 0
		.amdhsa_system_sgpr_workgroup_id_x 1
		.amdhsa_system_sgpr_workgroup_id_y 0
		.amdhsa_system_sgpr_workgroup_id_z 0
		.amdhsa_system_sgpr_workgroup_info 0
		.amdhsa_system_vgpr_workitem_id 0
		.amdhsa_next_free_vgpr 2
		.amdhsa_next_free_sgpr 6
		.amdhsa_accum_offset 4
		.amdhsa_reserve_vcc 0
		.amdhsa_reserve_flat_scratch 0
		.amdhsa_float_round_mode_32 0
		.amdhsa_float_round_mode_16_64 0
		.amdhsa_float_denorm_mode_32 3
		.amdhsa_float_denorm_mode_16_64 3
		.amdhsa_dx10_clamp 1
		.amdhsa_ieee_mode 1
		.amdhsa_fp16_overflow 0
		.amdhsa_tg_split 0
		.amdhsa_exception_fp_ieee_invalid_op 0
		.amdhsa_exception_fp_denorm_src 0
		.amdhsa_exception_fp_ieee_div_zero 0
		.amdhsa_exception_fp_ieee_overflow 0
		.amdhsa_exception_fp_ieee_underflow 0
		.amdhsa_exception_fp_ieee_inexact 0
		.amdhsa_exception_int_div_zero 0
	.end_amdhsa_kernel
	.section	.text._Z21device_test_warp_maskILj43EEvP10TestStatus,"axG",@progbits,_Z21device_test_warp_maskILj43EEvP10TestStatus,comdat
.Lfunc_end92:
	.size	_Z21device_test_warp_maskILj43EEvP10TestStatus, .Lfunc_end92-_Z21device_test_warp_maskILj43EEvP10TestStatus
                                        ; -- End function
	.section	.AMDGPU.csdata,"",@progbits
; Kernel info:
; codeLenInByte = 28
; NumSgprs: 10
; NumVgprs: 2
; NumAgprs: 0
; TotalNumVgprs: 2
; ScratchSize: 0
; MemoryBound: 0
; FloatMode: 240
; IeeeMode: 1
; LDSByteSize: 0 bytes/workgroup (compile time only)
; SGPRBlocks: 1
; VGPRBlocks: 0
; NumSGPRsForWavesPerEU: 10
; NumVGPRsForWavesPerEU: 2
; AccumOffset: 4
; Occupancy: 8
; WaveLimiterHint : 0
; COMPUTE_PGM_RSRC2:SCRATCH_EN: 0
; COMPUTE_PGM_RSRC2:USER_SGPR: 6
; COMPUTE_PGM_RSRC2:TRAP_HANDLER: 0
; COMPUTE_PGM_RSRC2:TGID_X_EN: 1
; COMPUTE_PGM_RSRC2:TGID_Y_EN: 0
; COMPUTE_PGM_RSRC2:TGID_Z_EN: 0
; COMPUTE_PGM_RSRC2:TIDIG_COMP_CNT: 0
; COMPUTE_PGM_RSRC3_GFX90A:ACCUM_OFFSET: 0
; COMPUTE_PGM_RSRC3_GFX90A:TG_SPLIT: 0
	.section	.text._Z21device_test_warp_maskILj44EEvP10TestStatus,"axG",@progbits,_Z21device_test_warp_maskILj44EEvP10TestStatus,comdat
	.protected	_Z21device_test_warp_maskILj44EEvP10TestStatus ; -- Begin function _Z21device_test_warp_maskILj44EEvP10TestStatus
	.globl	_Z21device_test_warp_maskILj44EEvP10TestStatus
	.p2align	8
	.type	_Z21device_test_warp_maskILj44EEvP10TestStatus,@function
_Z21device_test_warp_maskILj44EEvP10TestStatus: ; @_Z21device_test_warp_maskILj44EEvP10TestStatus
; %bb.0:
	s_load_dwordx2 s[0:1], s[4:5], 0x0
	v_mov_b32_e32 v1, 1
	s_waitcnt lgkmcnt(0)
	global_store_byte v0, v1, s[0:1]
	s_endpgm
	.section	.rodata,"a",@progbits
	.p2align	6, 0x0
	.amdhsa_kernel _Z21device_test_warp_maskILj44EEvP10TestStatus
		.amdhsa_group_segment_fixed_size 0
		.amdhsa_private_segment_fixed_size 0
		.amdhsa_kernarg_size 8
		.amdhsa_user_sgpr_count 6
		.amdhsa_user_sgpr_private_segment_buffer 1
		.amdhsa_user_sgpr_dispatch_ptr 0
		.amdhsa_user_sgpr_queue_ptr 0
		.amdhsa_user_sgpr_kernarg_segment_ptr 1
		.amdhsa_user_sgpr_dispatch_id 0
		.amdhsa_user_sgpr_flat_scratch_init 0
		.amdhsa_user_sgpr_kernarg_preload_length 0
		.amdhsa_user_sgpr_kernarg_preload_offset 0
		.amdhsa_user_sgpr_private_segment_size 0
		.amdhsa_uses_dynamic_stack 0
		.amdhsa_system_sgpr_private_segment_wavefront_offset 0
		.amdhsa_system_sgpr_workgroup_id_x 1
		.amdhsa_system_sgpr_workgroup_id_y 0
		.amdhsa_system_sgpr_workgroup_id_z 0
		.amdhsa_system_sgpr_workgroup_info 0
		.amdhsa_system_vgpr_workitem_id 0
		.amdhsa_next_free_vgpr 2
		.amdhsa_next_free_sgpr 6
		.amdhsa_accum_offset 4
		.amdhsa_reserve_vcc 0
		.amdhsa_reserve_flat_scratch 0
		.amdhsa_float_round_mode_32 0
		.amdhsa_float_round_mode_16_64 0
		.amdhsa_float_denorm_mode_32 3
		.amdhsa_float_denorm_mode_16_64 3
		.amdhsa_dx10_clamp 1
		.amdhsa_ieee_mode 1
		.amdhsa_fp16_overflow 0
		.amdhsa_tg_split 0
		.amdhsa_exception_fp_ieee_invalid_op 0
		.amdhsa_exception_fp_denorm_src 0
		.amdhsa_exception_fp_ieee_div_zero 0
		.amdhsa_exception_fp_ieee_overflow 0
		.amdhsa_exception_fp_ieee_underflow 0
		.amdhsa_exception_fp_ieee_inexact 0
		.amdhsa_exception_int_div_zero 0
	.end_amdhsa_kernel
	.section	.text._Z21device_test_warp_maskILj44EEvP10TestStatus,"axG",@progbits,_Z21device_test_warp_maskILj44EEvP10TestStatus,comdat
.Lfunc_end93:
	.size	_Z21device_test_warp_maskILj44EEvP10TestStatus, .Lfunc_end93-_Z21device_test_warp_maskILj44EEvP10TestStatus
                                        ; -- End function
	.section	.AMDGPU.csdata,"",@progbits
; Kernel info:
; codeLenInByte = 28
; NumSgprs: 10
; NumVgprs: 2
; NumAgprs: 0
; TotalNumVgprs: 2
; ScratchSize: 0
; MemoryBound: 0
; FloatMode: 240
; IeeeMode: 1
; LDSByteSize: 0 bytes/workgroup (compile time only)
; SGPRBlocks: 1
; VGPRBlocks: 0
; NumSGPRsForWavesPerEU: 10
; NumVGPRsForWavesPerEU: 2
; AccumOffset: 4
; Occupancy: 8
; WaveLimiterHint : 0
; COMPUTE_PGM_RSRC2:SCRATCH_EN: 0
; COMPUTE_PGM_RSRC2:USER_SGPR: 6
; COMPUTE_PGM_RSRC2:TRAP_HANDLER: 0
; COMPUTE_PGM_RSRC2:TGID_X_EN: 1
; COMPUTE_PGM_RSRC2:TGID_Y_EN: 0
; COMPUTE_PGM_RSRC2:TGID_Z_EN: 0
; COMPUTE_PGM_RSRC2:TIDIG_COMP_CNT: 0
; COMPUTE_PGM_RSRC3_GFX90A:ACCUM_OFFSET: 0
; COMPUTE_PGM_RSRC3_GFX90A:TG_SPLIT: 0
	.section	.text._Z21device_test_warp_maskILj45EEvP10TestStatus,"axG",@progbits,_Z21device_test_warp_maskILj45EEvP10TestStatus,comdat
	.protected	_Z21device_test_warp_maskILj45EEvP10TestStatus ; -- Begin function _Z21device_test_warp_maskILj45EEvP10TestStatus
	.globl	_Z21device_test_warp_maskILj45EEvP10TestStatus
	.p2align	8
	.type	_Z21device_test_warp_maskILj45EEvP10TestStatus,@function
_Z21device_test_warp_maskILj45EEvP10TestStatus: ; @_Z21device_test_warp_maskILj45EEvP10TestStatus
; %bb.0:
	s_load_dwordx2 s[0:1], s[4:5], 0x0
	v_mov_b32_e32 v1, 1
	s_waitcnt lgkmcnt(0)
	global_store_byte v0, v1, s[0:1]
	s_endpgm
	.section	.rodata,"a",@progbits
	.p2align	6, 0x0
	.amdhsa_kernel _Z21device_test_warp_maskILj45EEvP10TestStatus
		.amdhsa_group_segment_fixed_size 0
		.amdhsa_private_segment_fixed_size 0
		.amdhsa_kernarg_size 8
		.amdhsa_user_sgpr_count 6
		.amdhsa_user_sgpr_private_segment_buffer 1
		.amdhsa_user_sgpr_dispatch_ptr 0
		.amdhsa_user_sgpr_queue_ptr 0
		.amdhsa_user_sgpr_kernarg_segment_ptr 1
		.amdhsa_user_sgpr_dispatch_id 0
		.amdhsa_user_sgpr_flat_scratch_init 0
		.amdhsa_user_sgpr_kernarg_preload_length 0
		.amdhsa_user_sgpr_kernarg_preload_offset 0
		.amdhsa_user_sgpr_private_segment_size 0
		.amdhsa_uses_dynamic_stack 0
		.amdhsa_system_sgpr_private_segment_wavefront_offset 0
		.amdhsa_system_sgpr_workgroup_id_x 1
		.amdhsa_system_sgpr_workgroup_id_y 0
		.amdhsa_system_sgpr_workgroup_id_z 0
		.amdhsa_system_sgpr_workgroup_info 0
		.amdhsa_system_vgpr_workitem_id 0
		.amdhsa_next_free_vgpr 2
		.amdhsa_next_free_sgpr 6
		.amdhsa_accum_offset 4
		.amdhsa_reserve_vcc 0
		.amdhsa_reserve_flat_scratch 0
		.amdhsa_float_round_mode_32 0
		.amdhsa_float_round_mode_16_64 0
		.amdhsa_float_denorm_mode_32 3
		.amdhsa_float_denorm_mode_16_64 3
		.amdhsa_dx10_clamp 1
		.amdhsa_ieee_mode 1
		.amdhsa_fp16_overflow 0
		.amdhsa_tg_split 0
		.amdhsa_exception_fp_ieee_invalid_op 0
		.amdhsa_exception_fp_denorm_src 0
		.amdhsa_exception_fp_ieee_div_zero 0
		.amdhsa_exception_fp_ieee_overflow 0
		.amdhsa_exception_fp_ieee_underflow 0
		.amdhsa_exception_fp_ieee_inexact 0
		.amdhsa_exception_int_div_zero 0
	.end_amdhsa_kernel
	.section	.text._Z21device_test_warp_maskILj45EEvP10TestStatus,"axG",@progbits,_Z21device_test_warp_maskILj45EEvP10TestStatus,comdat
.Lfunc_end94:
	.size	_Z21device_test_warp_maskILj45EEvP10TestStatus, .Lfunc_end94-_Z21device_test_warp_maskILj45EEvP10TestStatus
                                        ; -- End function
	.section	.AMDGPU.csdata,"",@progbits
; Kernel info:
; codeLenInByte = 28
; NumSgprs: 10
; NumVgprs: 2
; NumAgprs: 0
; TotalNumVgprs: 2
; ScratchSize: 0
; MemoryBound: 0
; FloatMode: 240
; IeeeMode: 1
; LDSByteSize: 0 bytes/workgroup (compile time only)
; SGPRBlocks: 1
; VGPRBlocks: 0
; NumSGPRsForWavesPerEU: 10
; NumVGPRsForWavesPerEU: 2
; AccumOffset: 4
; Occupancy: 8
; WaveLimiterHint : 0
; COMPUTE_PGM_RSRC2:SCRATCH_EN: 0
; COMPUTE_PGM_RSRC2:USER_SGPR: 6
; COMPUTE_PGM_RSRC2:TRAP_HANDLER: 0
; COMPUTE_PGM_RSRC2:TGID_X_EN: 1
; COMPUTE_PGM_RSRC2:TGID_Y_EN: 0
; COMPUTE_PGM_RSRC2:TGID_Z_EN: 0
; COMPUTE_PGM_RSRC2:TIDIG_COMP_CNT: 0
; COMPUTE_PGM_RSRC3_GFX90A:ACCUM_OFFSET: 0
; COMPUTE_PGM_RSRC3_GFX90A:TG_SPLIT: 0
	.section	.text._Z21device_test_warp_maskILj46EEvP10TestStatus,"axG",@progbits,_Z21device_test_warp_maskILj46EEvP10TestStatus,comdat
	.protected	_Z21device_test_warp_maskILj46EEvP10TestStatus ; -- Begin function _Z21device_test_warp_maskILj46EEvP10TestStatus
	.globl	_Z21device_test_warp_maskILj46EEvP10TestStatus
	.p2align	8
	.type	_Z21device_test_warp_maskILj46EEvP10TestStatus,@function
_Z21device_test_warp_maskILj46EEvP10TestStatus: ; @_Z21device_test_warp_maskILj46EEvP10TestStatus
; %bb.0:
	s_load_dwordx2 s[0:1], s[4:5], 0x0
	v_mov_b32_e32 v1, 1
	s_waitcnt lgkmcnt(0)
	global_store_byte v0, v1, s[0:1]
	s_endpgm
	.section	.rodata,"a",@progbits
	.p2align	6, 0x0
	.amdhsa_kernel _Z21device_test_warp_maskILj46EEvP10TestStatus
		.amdhsa_group_segment_fixed_size 0
		.amdhsa_private_segment_fixed_size 0
		.amdhsa_kernarg_size 8
		.amdhsa_user_sgpr_count 6
		.amdhsa_user_sgpr_private_segment_buffer 1
		.amdhsa_user_sgpr_dispatch_ptr 0
		.amdhsa_user_sgpr_queue_ptr 0
		.amdhsa_user_sgpr_kernarg_segment_ptr 1
		.amdhsa_user_sgpr_dispatch_id 0
		.amdhsa_user_sgpr_flat_scratch_init 0
		.amdhsa_user_sgpr_kernarg_preload_length 0
		.amdhsa_user_sgpr_kernarg_preload_offset 0
		.amdhsa_user_sgpr_private_segment_size 0
		.amdhsa_uses_dynamic_stack 0
		.amdhsa_system_sgpr_private_segment_wavefront_offset 0
		.amdhsa_system_sgpr_workgroup_id_x 1
		.amdhsa_system_sgpr_workgroup_id_y 0
		.amdhsa_system_sgpr_workgroup_id_z 0
		.amdhsa_system_sgpr_workgroup_info 0
		.amdhsa_system_vgpr_workitem_id 0
		.amdhsa_next_free_vgpr 2
		.amdhsa_next_free_sgpr 6
		.amdhsa_accum_offset 4
		.amdhsa_reserve_vcc 0
		.amdhsa_reserve_flat_scratch 0
		.amdhsa_float_round_mode_32 0
		.amdhsa_float_round_mode_16_64 0
		.amdhsa_float_denorm_mode_32 3
		.amdhsa_float_denorm_mode_16_64 3
		.amdhsa_dx10_clamp 1
		.amdhsa_ieee_mode 1
		.amdhsa_fp16_overflow 0
		.amdhsa_tg_split 0
		.amdhsa_exception_fp_ieee_invalid_op 0
		.amdhsa_exception_fp_denorm_src 0
		.amdhsa_exception_fp_ieee_div_zero 0
		.amdhsa_exception_fp_ieee_overflow 0
		.amdhsa_exception_fp_ieee_underflow 0
		.amdhsa_exception_fp_ieee_inexact 0
		.amdhsa_exception_int_div_zero 0
	.end_amdhsa_kernel
	.section	.text._Z21device_test_warp_maskILj46EEvP10TestStatus,"axG",@progbits,_Z21device_test_warp_maskILj46EEvP10TestStatus,comdat
.Lfunc_end95:
	.size	_Z21device_test_warp_maskILj46EEvP10TestStatus, .Lfunc_end95-_Z21device_test_warp_maskILj46EEvP10TestStatus
                                        ; -- End function
	.section	.AMDGPU.csdata,"",@progbits
; Kernel info:
; codeLenInByte = 28
; NumSgprs: 10
; NumVgprs: 2
; NumAgprs: 0
; TotalNumVgprs: 2
; ScratchSize: 0
; MemoryBound: 0
; FloatMode: 240
; IeeeMode: 1
; LDSByteSize: 0 bytes/workgroup (compile time only)
; SGPRBlocks: 1
; VGPRBlocks: 0
; NumSGPRsForWavesPerEU: 10
; NumVGPRsForWavesPerEU: 2
; AccumOffset: 4
; Occupancy: 8
; WaveLimiterHint : 0
; COMPUTE_PGM_RSRC2:SCRATCH_EN: 0
; COMPUTE_PGM_RSRC2:USER_SGPR: 6
; COMPUTE_PGM_RSRC2:TRAP_HANDLER: 0
; COMPUTE_PGM_RSRC2:TGID_X_EN: 1
; COMPUTE_PGM_RSRC2:TGID_Y_EN: 0
; COMPUTE_PGM_RSRC2:TGID_Z_EN: 0
; COMPUTE_PGM_RSRC2:TIDIG_COMP_CNT: 0
; COMPUTE_PGM_RSRC3_GFX90A:ACCUM_OFFSET: 0
; COMPUTE_PGM_RSRC3_GFX90A:TG_SPLIT: 0
	.section	.text._Z21device_test_warp_maskILj47EEvP10TestStatus,"axG",@progbits,_Z21device_test_warp_maskILj47EEvP10TestStatus,comdat
	.protected	_Z21device_test_warp_maskILj47EEvP10TestStatus ; -- Begin function _Z21device_test_warp_maskILj47EEvP10TestStatus
	.globl	_Z21device_test_warp_maskILj47EEvP10TestStatus
	.p2align	8
	.type	_Z21device_test_warp_maskILj47EEvP10TestStatus,@function
_Z21device_test_warp_maskILj47EEvP10TestStatus: ; @_Z21device_test_warp_maskILj47EEvP10TestStatus
; %bb.0:
	s_load_dwordx2 s[0:1], s[4:5], 0x0
	v_mov_b32_e32 v1, 1
	s_waitcnt lgkmcnt(0)
	global_store_byte v0, v1, s[0:1]
	s_endpgm
	.section	.rodata,"a",@progbits
	.p2align	6, 0x0
	.amdhsa_kernel _Z21device_test_warp_maskILj47EEvP10TestStatus
		.amdhsa_group_segment_fixed_size 0
		.amdhsa_private_segment_fixed_size 0
		.amdhsa_kernarg_size 8
		.amdhsa_user_sgpr_count 6
		.amdhsa_user_sgpr_private_segment_buffer 1
		.amdhsa_user_sgpr_dispatch_ptr 0
		.amdhsa_user_sgpr_queue_ptr 0
		.amdhsa_user_sgpr_kernarg_segment_ptr 1
		.amdhsa_user_sgpr_dispatch_id 0
		.amdhsa_user_sgpr_flat_scratch_init 0
		.amdhsa_user_sgpr_kernarg_preload_length 0
		.amdhsa_user_sgpr_kernarg_preload_offset 0
		.amdhsa_user_sgpr_private_segment_size 0
		.amdhsa_uses_dynamic_stack 0
		.amdhsa_system_sgpr_private_segment_wavefront_offset 0
		.amdhsa_system_sgpr_workgroup_id_x 1
		.amdhsa_system_sgpr_workgroup_id_y 0
		.amdhsa_system_sgpr_workgroup_id_z 0
		.amdhsa_system_sgpr_workgroup_info 0
		.amdhsa_system_vgpr_workitem_id 0
		.amdhsa_next_free_vgpr 2
		.amdhsa_next_free_sgpr 6
		.amdhsa_accum_offset 4
		.amdhsa_reserve_vcc 0
		.amdhsa_reserve_flat_scratch 0
		.amdhsa_float_round_mode_32 0
		.amdhsa_float_round_mode_16_64 0
		.amdhsa_float_denorm_mode_32 3
		.amdhsa_float_denorm_mode_16_64 3
		.amdhsa_dx10_clamp 1
		.amdhsa_ieee_mode 1
		.amdhsa_fp16_overflow 0
		.amdhsa_tg_split 0
		.amdhsa_exception_fp_ieee_invalid_op 0
		.amdhsa_exception_fp_denorm_src 0
		.amdhsa_exception_fp_ieee_div_zero 0
		.amdhsa_exception_fp_ieee_overflow 0
		.amdhsa_exception_fp_ieee_underflow 0
		.amdhsa_exception_fp_ieee_inexact 0
		.amdhsa_exception_int_div_zero 0
	.end_amdhsa_kernel
	.section	.text._Z21device_test_warp_maskILj47EEvP10TestStatus,"axG",@progbits,_Z21device_test_warp_maskILj47EEvP10TestStatus,comdat
.Lfunc_end96:
	.size	_Z21device_test_warp_maskILj47EEvP10TestStatus, .Lfunc_end96-_Z21device_test_warp_maskILj47EEvP10TestStatus
                                        ; -- End function
	.section	.AMDGPU.csdata,"",@progbits
; Kernel info:
; codeLenInByte = 28
; NumSgprs: 10
; NumVgprs: 2
; NumAgprs: 0
; TotalNumVgprs: 2
; ScratchSize: 0
; MemoryBound: 0
; FloatMode: 240
; IeeeMode: 1
; LDSByteSize: 0 bytes/workgroup (compile time only)
; SGPRBlocks: 1
; VGPRBlocks: 0
; NumSGPRsForWavesPerEU: 10
; NumVGPRsForWavesPerEU: 2
; AccumOffset: 4
; Occupancy: 8
; WaveLimiterHint : 0
; COMPUTE_PGM_RSRC2:SCRATCH_EN: 0
; COMPUTE_PGM_RSRC2:USER_SGPR: 6
; COMPUTE_PGM_RSRC2:TRAP_HANDLER: 0
; COMPUTE_PGM_RSRC2:TGID_X_EN: 1
; COMPUTE_PGM_RSRC2:TGID_Y_EN: 0
; COMPUTE_PGM_RSRC2:TGID_Z_EN: 0
; COMPUTE_PGM_RSRC2:TIDIG_COMP_CNT: 0
; COMPUTE_PGM_RSRC3_GFX90A:ACCUM_OFFSET: 0
; COMPUTE_PGM_RSRC3_GFX90A:TG_SPLIT: 0
	.section	.text._Z21device_test_warp_maskILj48EEvP10TestStatus,"axG",@progbits,_Z21device_test_warp_maskILj48EEvP10TestStatus,comdat
	.protected	_Z21device_test_warp_maskILj48EEvP10TestStatus ; -- Begin function _Z21device_test_warp_maskILj48EEvP10TestStatus
	.globl	_Z21device_test_warp_maskILj48EEvP10TestStatus
	.p2align	8
	.type	_Z21device_test_warp_maskILj48EEvP10TestStatus,@function
_Z21device_test_warp_maskILj48EEvP10TestStatus: ; @_Z21device_test_warp_maskILj48EEvP10TestStatus
; %bb.0:
	s_load_dwordx2 s[0:1], s[4:5], 0x0
	v_mov_b32_e32 v1, 1
	s_waitcnt lgkmcnt(0)
	global_store_byte v0, v1, s[0:1]
	s_endpgm
	.section	.rodata,"a",@progbits
	.p2align	6, 0x0
	.amdhsa_kernel _Z21device_test_warp_maskILj48EEvP10TestStatus
		.amdhsa_group_segment_fixed_size 0
		.amdhsa_private_segment_fixed_size 0
		.amdhsa_kernarg_size 8
		.amdhsa_user_sgpr_count 6
		.amdhsa_user_sgpr_private_segment_buffer 1
		.amdhsa_user_sgpr_dispatch_ptr 0
		.amdhsa_user_sgpr_queue_ptr 0
		.amdhsa_user_sgpr_kernarg_segment_ptr 1
		.amdhsa_user_sgpr_dispatch_id 0
		.amdhsa_user_sgpr_flat_scratch_init 0
		.amdhsa_user_sgpr_kernarg_preload_length 0
		.amdhsa_user_sgpr_kernarg_preload_offset 0
		.amdhsa_user_sgpr_private_segment_size 0
		.amdhsa_uses_dynamic_stack 0
		.amdhsa_system_sgpr_private_segment_wavefront_offset 0
		.amdhsa_system_sgpr_workgroup_id_x 1
		.amdhsa_system_sgpr_workgroup_id_y 0
		.amdhsa_system_sgpr_workgroup_id_z 0
		.amdhsa_system_sgpr_workgroup_info 0
		.amdhsa_system_vgpr_workitem_id 0
		.amdhsa_next_free_vgpr 2
		.amdhsa_next_free_sgpr 6
		.amdhsa_accum_offset 4
		.amdhsa_reserve_vcc 0
		.amdhsa_reserve_flat_scratch 0
		.amdhsa_float_round_mode_32 0
		.amdhsa_float_round_mode_16_64 0
		.amdhsa_float_denorm_mode_32 3
		.amdhsa_float_denorm_mode_16_64 3
		.amdhsa_dx10_clamp 1
		.amdhsa_ieee_mode 1
		.amdhsa_fp16_overflow 0
		.amdhsa_tg_split 0
		.amdhsa_exception_fp_ieee_invalid_op 0
		.amdhsa_exception_fp_denorm_src 0
		.amdhsa_exception_fp_ieee_div_zero 0
		.amdhsa_exception_fp_ieee_overflow 0
		.amdhsa_exception_fp_ieee_underflow 0
		.amdhsa_exception_fp_ieee_inexact 0
		.amdhsa_exception_int_div_zero 0
	.end_amdhsa_kernel
	.section	.text._Z21device_test_warp_maskILj48EEvP10TestStatus,"axG",@progbits,_Z21device_test_warp_maskILj48EEvP10TestStatus,comdat
.Lfunc_end97:
	.size	_Z21device_test_warp_maskILj48EEvP10TestStatus, .Lfunc_end97-_Z21device_test_warp_maskILj48EEvP10TestStatus
                                        ; -- End function
	.section	.AMDGPU.csdata,"",@progbits
; Kernel info:
; codeLenInByte = 28
; NumSgprs: 10
; NumVgprs: 2
; NumAgprs: 0
; TotalNumVgprs: 2
; ScratchSize: 0
; MemoryBound: 0
; FloatMode: 240
; IeeeMode: 1
; LDSByteSize: 0 bytes/workgroup (compile time only)
; SGPRBlocks: 1
; VGPRBlocks: 0
; NumSGPRsForWavesPerEU: 10
; NumVGPRsForWavesPerEU: 2
; AccumOffset: 4
; Occupancy: 8
; WaveLimiterHint : 0
; COMPUTE_PGM_RSRC2:SCRATCH_EN: 0
; COMPUTE_PGM_RSRC2:USER_SGPR: 6
; COMPUTE_PGM_RSRC2:TRAP_HANDLER: 0
; COMPUTE_PGM_RSRC2:TGID_X_EN: 1
; COMPUTE_PGM_RSRC2:TGID_Y_EN: 0
; COMPUTE_PGM_RSRC2:TGID_Z_EN: 0
; COMPUTE_PGM_RSRC2:TIDIG_COMP_CNT: 0
; COMPUTE_PGM_RSRC3_GFX90A:ACCUM_OFFSET: 0
; COMPUTE_PGM_RSRC3_GFX90A:TG_SPLIT: 0
	.section	.text._Z21device_test_warp_maskILj49EEvP10TestStatus,"axG",@progbits,_Z21device_test_warp_maskILj49EEvP10TestStatus,comdat
	.protected	_Z21device_test_warp_maskILj49EEvP10TestStatus ; -- Begin function _Z21device_test_warp_maskILj49EEvP10TestStatus
	.globl	_Z21device_test_warp_maskILj49EEvP10TestStatus
	.p2align	8
	.type	_Z21device_test_warp_maskILj49EEvP10TestStatus,@function
_Z21device_test_warp_maskILj49EEvP10TestStatus: ; @_Z21device_test_warp_maskILj49EEvP10TestStatus
; %bb.0:
	s_load_dwordx2 s[0:1], s[4:5], 0x0
	v_mov_b32_e32 v1, 1
	s_waitcnt lgkmcnt(0)
	global_store_byte v0, v1, s[0:1]
	s_endpgm
	.section	.rodata,"a",@progbits
	.p2align	6, 0x0
	.amdhsa_kernel _Z21device_test_warp_maskILj49EEvP10TestStatus
		.amdhsa_group_segment_fixed_size 0
		.amdhsa_private_segment_fixed_size 0
		.amdhsa_kernarg_size 8
		.amdhsa_user_sgpr_count 6
		.amdhsa_user_sgpr_private_segment_buffer 1
		.amdhsa_user_sgpr_dispatch_ptr 0
		.amdhsa_user_sgpr_queue_ptr 0
		.amdhsa_user_sgpr_kernarg_segment_ptr 1
		.amdhsa_user_sgpr_dispatch_id 0
		.amdhsa_user_sgpr_flat_scratch_init 0
		.amdhsa_user_sgpr_kernarg_preload_length 0
		.amdhsa_user_sgpr_kernarg_preload_offset 0
		.amdhsa_user_sgpr_private_segment_size 0
		.amdhsa_uses_dynamic_stack 0
		.amdhsa_system_sgpr_private_segment_wavefront_offset 0
		.amdhsa_system_sgpr_workgroup_id_x 1
		.amdhsa_system_sgpr_workgroup_id_y 0
		.amdhsa_system_sgpr_workgroup_id_z 0
		.amdhsa_system_sgpr_workgroup_info 0
		.amdhsa_system_vgpr_workitem_id 0
		.amdhsa_next_free_vgpr 2
		.amdhsa_next_free_sgpr 6
		.amdhsa_accum_offset 4
		.amdhsa_reserve_vcc 0
		.amdhsa_reserve_flat_scratch 0
		.amdhsa_float_round_mode_32 0
		.amdhsa_float_round_mode_16_64 0
		.amdhsa_float_denorm_mode_32 3
		.amdhsa_float_denorm_mode_16_64 3
		.amdhsa_dx10_clamp 1
		.amdhsa_ieee_mode 1
		.amdhsa_fp16_overflow 0
		.amdhsa_tg_split 0
		.amdhsa_exception_fp_ieee_invalid_op 0
		.amdhsa_exception_fp_denorm_src 0
		.amdhsa_exception_fp_ieee_div_zero 0
		.amdhsa_exception_fp_ieee_overflow 0
		.amdhsa_exception_fp_ieee_underflow 0
		.amdhsa_exception_fp_ieee_inexact 0
		.amdhsa_exception_int_div_zero 0
	.end_amdhsa_kernel
	.section	.text._Z21device_test_warp_maskILj49EEvP10TestStatus,"axG",@progbits,_Z21device_test_warp_maskILj49EEvP10TestStatus,comdat
.Lfunc_end98:
	.size	_Z21device_test_warp_maskILj49EEvP10TestStatus, .Lfunc_end98-_Z21device_test_warp_maskILj49EEvP10TestStatus
                                        ; -- End function
	.section	.AMDGPU.csdata,"",@progbits
; Kernel info:
; codeLenInByte = 28
; NumSgprs: 10
; NumVgprs: 2
; NumAgprs: 0
; TotalNumVgprs: 2
; ScratchSize: 0
; MemoryBound: 0
; FloatMode: 240
; IeeeMode: 1
; LDSByteSize: 0 bytes/workgroup (compile time only)
; SGPRBlocks: 1
; VGPRBlocks: 0
; NumSGPRsForWavesPerEU: 10
; NumVGPRsForWavesPerEU: 2
; AccumOffset: 4
; Occupancy: 8
; WaveLimiterHint : 0
; COMPUTE_PGM_RSRC2:SCRATCH_EN: 0
; COMPUTE_PGM_RSRC2:USER_SGPR: 6
; COMPUTE_PGM_RSRC2:TRAP_HANDLER: 0
; COMPUTE_PGM_RSRC2:TGID_X_EN: 1
; COMPUTE_PGM_RSRC2:TGID_Y_EN: 0
; COMPUTE_PGM_RSRC2:TGID_Z_EN: 0
; COMPUTE_PGM_RSRC2:TIDIG_COMP_CNT: 0
; COMPUTE_PGM_RSRC3_GFX90A:ACCUM_OFFSET: 0
; COMPUTE_PGM_RSRC3_GFX90A:TG_SPLIT: 0
	.section	.text._Z21device_test_warp_maskILj50EEvP10TestStatus,"axG",@progbits,_Z21device_test_warp_maskILj50EEvP10TestStatus,comdat
	.protected	_Z21device_test_warp_maskILj50EEvP10TestStatus ; -- Begin function _Z21device_test_warp_maskILj50EEvP10TestStatus
	.globl	_Z21device_test_warp_maskILj50EEvP10TestStatus
	.p2align	8
	.type	_Z21device_test_warp_maskILj50EEvP10TestStatus,@function
_Z21device_test_warp_maskILj50EEvP10TestStatus: ; @_Z21device_test_warp_maskILj50EEvP10TestStatus
; %bb.0:
	s_load_dwordx2 s[0:1], s[4:5], 0x0
	v_mov_b32_e32 v1, 1
	s_waitcnt lgkmcnt(0)
	global_store_byte v0, v1, s[0:1]
	s_endpgm
	.section	.rodata,"a",@progbits
	.p2align	6, 0x0
	.amdhsa_kernel _Z21device_test_warp_maskILj50EEvP10TestStatus
		.amdhsa_group_segment_fixed_size 0
		.amdhsa_private_segment_fixed_size 0
		.amdhsa_kernarg_size 8
		.amdhsa_user_sgpr_count 6
		.amdhsa_user_sgpr_private_segment_buffer 1
		.amdhsa_user_sgpr_dispatch_ptr 0
		.amdhsa_user_sgpr_queue_ptr 0
		.amdhsa_user_sgpr_kernarg_segment_ptr 1
		.amdhsa_user_sgpr_dispatch_id 0
		.amdhsa_user_sgpr_flat_scratch_init 0
		.amdhsa_user_sgpr_kernarg_preload_length 0
		.amdhsa_user_sgpr_kernarg_preload_offset 0
		.amdhsa_user_sgpr_private_segment_size 0
		.amdhsa_uses_dynamic_stack 0
		.amdhsa_system_sgpr_private_segment_wavefront_offset 0
		.amdhsa_system_sgpr_workgroup_id_x 1
		.amdhsa_system_sgpr_workgroup_id_y 0
		.amdhsa_system_sgpr_workgroup_id_z 0
		.amdhsa_system_sgpr_workgroup_info 0
		.amdhsa_system_vgpr_workitem_id 0
		.amdhsa_next_free_vgpr 2
		.amdhsa_next_free_sgpr 6
		.amdhsa_accum_offset 4
		.amdhsa_reserve_vcc 0
		.amdhsa_reserve_flat_scratch 0
		.amdhsa_float_round_mode_32 0
		.amdhsa_float_round_mode_16_64 0
		.amdhsa_float_denorm_mode_32 3
		.amdhsa_float_denorm_mode_16_64 3
		.amdhsa_dx10_clamp 1
		.amdhsa_ieee_mode 1
		.amdhsa_fp16_overflow 0
		.amdhsa_tg_split 0
		.amdhsa_exception_fp_ieee_invalid_op 0
		.amdhsa_exception_fp_denorm_src 0
		.amdhsa_exception_fp_ieee_div_zero 0
		.amdhsa_exception_fp_ieee_overflow 0
		.amdhsa_exception_fp_ieee_underflow 0
		.amdhsa_exception_fp_ieee_inexact 0
		.amdhsa_exception_int_div_zero 0
	.end_amdhsa_kernel
	.section	.text._Z21device_test_warp_maskILj50EEvP10TestStatus,"axG",@progbits,_Z21device_test_warp_maskILj50EEvP10TestStatus,comdat
.Lfunc_end99:
	.size	_Z21device_test_warp_maskILj50EEvP10TestStatus, .Lfunc_end99-_Z21device_test_warp_maskILj50EEvP10TestStatus
                                        ; -- End function
	.section	.AMDGPU.csdata,"",@progbits
; Kernel info:
; codeLenInByte = 28
; NumSgprs: 10
; NumVgprs: 2
; NumAgprs: 0
; TotalNumVgprs: 2
; ScratchSize: 0
; MemoryBound: 0
; FloatMode: 240
; IeeeMode: 1
; LDSByteSize: 0 bytes/workgroup (compile time only)
; SGPRBlocks: 1
; VGPRBlocks: 0
; NumSGPRsForWavesPerEU: 10
; NumVGPRsForWavesPerEU: 2
; AccumOffset: 4
; Occupancy: 8
; WaveLimiterHint : 0
; COMPUTE_PGM_RSRC2:SCRATCH_EN: 0
; COMPUTE_PGM_RSRC2:USER_SGPR: 6
; COMPUTE_PGM_RSRC2:TRAP_HANDLER: 0
; COMPUTE_PGM_RSRC2:TGID_X_EN: 1
; COMPUTE_PGM_RSRC2:TGID_Y_EN: 0
; COMPUTE_PGM_RSRC2:TGID_Z_EN: 0
; COMPUTE_PGM_RSRC2:TIDIG_COMP_CNT: 0
; COMPUTE_PGM_RSRC3_GFX90A:ACCUM_OFFSET: 0
; COMPUTE_PGM_RSRC3_GFX90A:TG_SPLIT: 0
	.section	.text._Z21device_test_warp_maskILj51EEvP10TestStatus,"axG",@progbits,_Z21device_test_warp_maskILj51EEvP10TestStatus,comdat
	.protected	_Z21device_test_warp_maskILj51EEvP10TestStatus ; -- Begin function _Z21device_test_warp_maskILj51EEvP10TestStatus
	.globl	_Z21device_test_warp_maskILj51EEvP10TestStatus
	.p2align	8
	.type	_Z21device_test_warp_maskILj51EEvP10TestStatus,@function
_Z21device_test_warp_maskILj51EEvP10TestStatus: ; @_Z21device_test_warp_maskILj51EEvP10TestStatus
; %bb.0:
	s_load_dwordx2 s[0:1], s[4:5], 0x0
	v_mov_b32_e32 v1, 1
	s_waitcnt lgkmcnt(0)
	global_store_byte v0, v1, s[0:1]
	s_endpgm
	.section	.rodata,"a",@progbits
	.p2align	6, 0x0
	.amdhsa_kernel _Z21device_test_warp_maskILj51EEvP10TestStatus
		.amdhsa_group_segment_fixed_size 0
		.amdhsa_private_segment_fixed_size 0
		.amdhsa_kernarg_size 8
		.amdhsa_user_sgpr_count 6
		.amdhsa_user_sgpr_private_segment_buffer 1
		.amdhsa_user_sgpr_dispatch_ptr 0
		.amdhsa_user_sgpr_queue_ptr 0
		.amdhsa_user_sgpr_kernarg_segment_ptr 1
		.amdhsa_user_sgpr_dispatch_id 0
		.amdhsa_user_sgpr_flat_scratch_init 0
		.amdhsa_user_sgpr_kernarg_preload_length 0
		.amdhsa_user_sgpr_kernarg_preload_offset 0
		.amdhsa_user_sgpr_private_segment_size 0
		.amdhsa_uses_dynamic_stack 0
		.amdhsa_system_sgpr_private_segment_wavefront_offset 0
		.amdhsa_system_sgpr_workgroup_id_x 1
		.amdhsa_system_sgpr_workgroup_id_y 0
		.amdhsa_system_sgpr_workgroup_id_z 0
		.amdhsa_system_sgpr_workgroup_info 0
		.amdhsa_system_vgpr_workitem_id 0
		.amdhsa_next_free_vgpr 2
		.amdhsa_next_free_sgpr 6
		.amdhsa_accum_offset 4
		.amdhsa_reserve_vcc 0
		.amdhsa_reserve_flat_scratch 0
		.amdhsa_float_round_mode_32 0
		.amdhsa_float_round_mode_16_64 0
		.amdhsa_float_denorm_mode_32 3
		.amdhsa_float_denorm_mode_16_64 3
		.amdhsa_dx10_clamp 1
		.amdhsa_ieee_mode 1
		.amdhsa_fp16_overflow 0
		.amdhsa_tg_split 0
		.amdhsa_exception_fp_ieee_invalid_op 0
		.amdhsa_exception_fp_denorm_src 0
		.amdhsa_exception_fp_ieee_div_zero 0
		.amdhsa_exception_fp_ieee_overflow 0
		.amdhsa_exception_fp_ieee_underflow 0
		.amdhsa_exception_fp_ieee_inexact 0
		.amdhsa_exception_int_div_zero 0
	.end_amdhsa_kernel
	.section	.text._Z21device_test_warp_maskILj51EEvP10TestStatus,"axG",@progbits,_Z21device_test_warp_maskILj51EEvP10TestStatus,comdat
.Lfunc_end100:
	.size	_Z21device_test_warp_maskILj51EEvP10TestStatus, .Lfunc_end100-_Z21device_test_warp_maskILj51EEvP10TestStatus
                                        ; -- End function
	.section	.AMDGPU.csdata,"",@progbits
; Kernel info:
; codeLenInByte = 28
; NumSgprs: 10
; NumVgprs: 2
; NumAgprs: 0
; TotalNumVgprs: 2
; ScratchSize: 0
; MemoryBound: 0
; FloatMode: 240
; IeeeMode: 1
; LDSByteSize: 0 bytes/workgroup (compile time only)
; SGPRBlocks: 1
; VGPRBlocks: 0
; NumSGPRsForWavesPerEU: 10
; NumVGPRsForWavesPerEU: 2
; AccumOffset: 4
; Occupancy: 8
; WaveLimiterHint : 0
; COMPUTE_PGM_RSRC2:SCRATCH_EN: 0
; COMPUTE_PGM_RSRC2:USER_SGPR: 6
; COMPUTE_PGM_RSRC2:TRAP_HANDLER: 0
; COMPUTE_PGM_RSRC2:TGID_X_EN: 1
; COMPUTE_PGM_RSRC2:TGID_Y_EN: 0
; COMPUTE_PGM_RSRC2:TGID_Z_EN: 0
; COMPUTE_PGM_RSRC2:TIDIG_COMP_CNT: 0
; COMPUTE_PGM_RSRC3_GFX90A:ACCUM_OFFSET: 0
; COMPUTE_PGM_RSRC3_GFX90A:TG_SPLIT: 0
	.section	.text._Z21device_test_warp_maskILj52EEvP10TestStatus,"axG",@progbits,_Z21device_test_warp_maskILj52EEvP10TestStatus,comdat
	.protected	_Z21device_test_warp_maskILj52EEvP10TestStatus ; -- Begin function _Z21device_test_warp_maskILj52EEvP10TestStatus
	.globl	_Z21device_test_warp_maskILj52EEvP10TestStatus
	.p2align	8
	.type	_Z21device_test_warp_maskILj52EEvP10TestStatus,@function
_Z21device_test_warp_maskILj52EEvP10TestStatus: ; @_Z21device_test_warp_maskILj52EEvP10TestStatus
; %bb.0:
	s_load_dwordx2 s[0:1], s[4:5], 0x0
	v_mov_b32_e32 v1, 1
	s_waitcnt lgkmcnt(0)
	global_store_byte v0, v1, s[0:1]
	s_endpgm
	.section	.rodata,"a",@progbits
	.p2align	6, 0x0
	.amdhsa_kernel _Z21device_test_warp_maskILj52EEvP10TestStatus
		.amdhsa_group_segment_fixed_size 0
		.amdhsa_private_segment_fixed_size 0
		.amdhsa_kernarg_size 8
		.amdhsa_user_sgpr_count 6
		.amdhsa_user_sgpr_private_segment_buffer 1
		.amdhsa_user_sgpr_dispatch_ptr 0
		.amdhsa_user_sgpr_queue_ptr 0
		.amdhsa_user_sgpr_kernarg_segment_ptr 1
		.amdhsa_user_sgpr_dispatch_id 0
		.amdhsa_user_sgpr_flat_scratch_init 0
		.amdhsa_user_sgpr_kernarg_preload_length 0
		.amdhsa_user_sgpr_kernarg_preload_offset 0
		.amdhsa_user_sgpr_private_segment_size 0
		.amdhsa_uses_dynamic_stack 0
		.amdhsa_system_sgpr_private_segment_wavefront_offset 0
		.amdhsa_system_sgpr_workgroup_id_x 1
		.amdhsa_system_sgpr_workgroup_id_y 0
		.amdhsa_system_sgpr_workgroup_id_z 0
		.amdhsa_system_sgpr_workgroup_info 0
		.amdhsa_system_vgpr_workitem_id 0
		.amdhsa_next_free_vgpr 2
		.amdhsa_next_free_sgpr 6
		.amdhsa_accum_offset 4
		.amdhsa_reserve_vcc 0
		.amdhsa_reserve_flat_scratch 0
		.amdhsa_float_round_mode_32 0
		.amdhsa_float_round_mode_16_64 0
		.amdhsa_float_denorm_mode_32 3
		.amdhsa_float_denorm_mode_16_64 3
		.amdhsa_dx10_clamp 1
		.amdhsa_ieee_mode 1
		.amdhsa_fp16_overflow 0
		.amdhsa_tg_split 0
		.amdhsa_exception_fp_ieee_invalid_op 0
		.amdhsa_exception_fp_denorm_src 0
		.amdhsa_exception_fp_ieee_div_zero 0
		.amdhsa_exception_fp_ieee_overflow 0
		.amdhsa_exception_fp_ieee_underflow 0
		.amdhsa_exception_fp_ieee_inexact 0
		.amdhsa_exception_int_div_zero 0
	.end_amdhsa_kernel
	.section	.text._Z21device_test_warp_maskILj52EEvP10TestStatus,"axG",@progbits,_Z21device_test_warp_maskILj52EEvP10TestStatus,comdat
.Lfunc_end101:
	.size	_Z21device_test_warp_maskILj52EEvP10TestStatus, .Lfunc_end101-_Z21device_test_warp_maskILj52EEvP10TestStatus
                                        ; -- End function
	.section	.AMDGPU.csdata,"",@progbits
; Kernel info:
; codeLenInByte = 28
; NumSgprs: 10
; NumVgprs: 2
; NumAgprs: 0
; TotalNumVgprs: 2
; ScratchSize: 0
; MemoryBound: 0
; FloatMode: 240
; IeeeMode: 1
; LDSByteSize: 0 bytes/workgroup (compile time only)
; SGPRBlocks: 1
; VGPRBlocks: 0
; NumSGPRsForWavesPerEU: 10
; NumVGPRsForWavesPerEU: 2
; AccumOffset: 4
; Occupancy: 8
; WaveLimiterHint : 0
; COMPUTE_PGM_RSRC2:SCRATCH_EN: 0
; COMPUTE_PGM_RSRC2:USER_SGPR: 6
; COMPUTE_PGM_RSRC2:TRAP_HANDLER: 0
; COMPUTE_PGM_RSRC2:TGID_X_EN: 1
; COMPUTE_PGM_RSRC2:TGID_Y_EN: 0
; COMPUTE_PGM_RSRC2:TGID_Z_EN: 0
; COMPUTE_PGM_RSRC2:TIDIG_COMP_CNT: 0
; COMPUTE_PGM_RSRC3_GFX90A:ACCUM_OFFSET: 0
; COMPUTE_PGM_RSRC3_GFX90A:TG_SPLIT: 0
	.section	.text._Z21device_test_warp_maskILj53EEvP10TestStatus,"axG",@progbits,_Z21device_test_warp_maskILj53EEvP10TestStatus,comdat
	.protected	_Z21device_test_warp_maskILj53EEvP10TestStatus ; -- Begin function _Z21device_test_warp_maskILj53EEvP10TestStatus
	.globl	_Z21device_test_warp_maskILj53EEvP10TestStatus
	.p2align	8
	.type	_Z21device_test_warp_maskILj53EEvP10TestStatus,@function
_Z21device_test_warp_maskILj53EEvP10TestStatus: ; @_Z21device_test_warp_maskILj53EEvP10TestStatus
; %bb.0:
	s_load_dwordx2 s[0:1], s[4:5], 0x0
	v_mov_b32_e32 v1, 1
	s_waitcnt lgkmcnt(0)
	global_store_byte v0, v1, s[0:1]
	s_endpgm
	.section	.rodata,"a",@progbits
	.p2align	6, 0x0
	.amdhsa_kernel _Z21device_test_warp_maskILj53EEvP10TestStatus
		.amdhsa_group_segment_fixed_size 0
		.amdhsa_private_segment_fixed_size 0
		.amdhsa_kernarg_size 8
		.amdhsa_user_sgpr_count 6
		.amdhsa_user_sgpr_private_segment_buffer 1
		.amdhsa_user_sgpr_dispatch_ptr 0
		.amdhsa_user_sgpr_queue_ptr 0
		.amdhsa_user_sgpr_kernarg_segment_ptr 1
		.amdhsa_user_sgpr_dispatch_id 0
		.amdhsa_user_sgpr_flat_scratch_init 0
		.amdhsa_user_sgpr_kernarg_preload_length 0
		.amdhsa_user_sgpr_kernarg_preload_offset 0
		.amdhsa_user_sgpr_private_segment_size 0
		.amdhsa_uses_dynamic_stack 0
		.amdhsa_system_sgpr_private_segment_wavefront_offset 0
		.amdhsa_system_sgpr_workgroup_id_x 1
		.amdhsa_system_sgpr_workgroup_id_y 0
		.amdhsa_system_sgpr_workgroup_id_z 0
		.amdhsa_system_sgpr_workgroup_info 0
		.amdhsa_system_vgpr_workitem_id 0
		.amdhsa_next_free_vgpr 2
		.amdhsa_next_free_sgpr 6
		.amdhsa_accum_offset 4
		.amdhsa_reserve_vcc 0
		.amdhsa_reserve_flat_scratch 0
		.amdhsa_float_round_mode_32 0
		.amdhsa_float_round_mode_16_64 0
		.amdhsa_float_denorm_mode_32 3
		.amdhsa_float_denorm_mode_16_64 3
		.amdhsa_dx10_clamp 1
		.amdhsa_ieee_mode 1
		.amdhsa_fp16_overflow 0
		.amdhsa_tg_split 0
		.amdhsa_exception_fp_ieee_invalid_op 0
		.amdhsa_exception_fp_denorm_src 0
		.amdhsa_exception_fp_ieee_div_zero 0
		.amdhsa_exception_fp_ieee_overflow 0
		.amdhsa_exception_fp_ieee_underflow 0
		.amdhsa_exception_fp_ieee_inexact 0
		.amdhsa_exception_int_div_zero 0
	.end_amdhsa_kernel
	.section	.text._Z21device_test_warp_maskILj53EEvP10TestStatus,"axG",@progbits,_Z21device_test_warp_maskILj53EEvP10TestStatus,comdat
.Lfunc_end102:
	.size	_Z21device_test_warp_maskILj53EEvP10TestStatus, .Lfunc_end102-_Z21device_test_warp_maskILj53EEvP10TestStatus
                                        ; -- End function
	.section	.AMDGPU.csdata,"",@progbits
; Kernel info:
; codeLenInByte = 28
; NumSgprs: 10
; NumVgprs: 2
; NumAgprs: 0
; TotalNumVgprs: 2
; ScratchSize: 0
; MemoryBound: 0
; FloatMode: 240
; IeeeMode: 1
; LDSByteSize: 0 bytes/workgroup (compile time only)
; SGPRBlocks: 1
; VGPRBlocks: 0
; NumSGPRsForWavesPerEU: 10
; NumVGPRsForWavesPerEU: 2
; AccumOffset: 4
; Occupancy: 8
; WaveLimiterHint : 0
; COMPUTE_PGM_RSRC2:SCRATCH_EN: 0
; COMPUTE_PGM_RSRC2:USER_SGPR: 6
; COMPUTE_PGM_RSRC2:TRAP_HANDLER: 0
; COMPUTE_PGM_RSRC2:TGID_X_EN: 1
; COMPUTE_PGM_RSRC2:TGID_Y_EN: 0
; COMPUTE_PGM_RSRC2:TGID_Z_EN: 0
; COMPUTE_PGM_RSRC2:TIDIG_COMP_CNT: 0
; COMPUTE_PGM_RSRC3_GFX90A:ACCUM_OFFSET: 0
; COMPUTE_PGM_RSRC3_GFX90A:TG_SPLIT: 0
	.section	.text._Z21device_test_warp_maskILj54EEvP10TestStatus,"axG",@progbits,_Z21device_test_warp_maskILj54EEvP10TestStatus,comdat
	.protected	_Z21device_test_warp_maskILj54EEvP10TestStatus ; -- Begin function _Z21device_test_warp_maskILj54EEvP10TestStatus
	.globl	_Z21device_test_warp_maskILj54EEvP10TestStatus
	.p2align	8
	.type	_Z21device_test_warp_maskILj54EEvP10TestStatus,@function
_Z21device_test_warp_maskILj54EEvP10TestStatus: ; @_Z21device_test_warp_maskILj54EEvP10TestStatus
; %bb.0:
	s_load_dwordx2 s[0:1], s[4:5], 0x0
	v_mov_b32_e32 v1, 1
	s_waitcnt lgkmcnt(0)
	global_store_byte v0, v1, s[0:1]
	s_endpgm
	.section	.rodata,"a",@progbits
	.p2align	6, 0x0
	.amdhsa_kernel _Z21device_test_warp_maskILj54EEvP10TestStatus
		.amdhsa_group_segment_fixed_size 0
		.amdhsa_private_segment_fixed_size 0
		.amdhsa_kernarg_size 8
		.amdhsa_user_sgpr_count 6
		.amdhsa_user_sgpr_private_segment_buffer 1
		.amdhsa_user_sgpr_dispatch_ptr 0
		.amdhsa_user_sgpr_queue_ptr 0
		.amdhsa_user_sgpr_kernarg_segment_ptr 1
		.amdhsa_user_sgpr_dispatch_id 0
		.amdhsa_user_sgpr_flat_scratch_init 0
		.amdhsa_user_sgpr_kernarg_preload_length 0
		.amdhsa_user_sgpr_kernarg_preload_offset 0
		.amdhsa_user_sgpr_private_segment_size 0
		.amdhsa_uses_dynamic_stack 0
		.amdhsa_system_sgpr_private_segment_wavefront_offset 0
		.amdhsa_system_sgpr_workgroup_id_x 1
		.amdhsa_system_sgpr_workgroup_id_y 0
		.amdhsa_system_sgpr_workgroup_id_z 0
		.amdhsa_system_sgpr_workgroup_info 0
		.amdhsa_system_vgpr_workitem_id 0
		.amdhsa_next_free_vgpr 2
		.amdhsa_next_free_sgpr 6
		.amdhsa_accum_offset 4
		.amdhsa_reserve_vcc 0
		.amdhsa_reserve_flat_scratch 0
		.amdhsa_float_round_mode_32 0
		.amdhsa_float_round_mode_16_64 0
		.amdhsa_float_denorm_mode_32 3
		.amdhsa_float_denorm_mode_16_64 3
		.amdhsa_dx10_clamp 1
		.amdhsa_ieee_mode 1
		.amdhsa_fp16_overflow 0
		.amdhsa_tg_split 0
		.amdhsa_exception_fp_ieee_invalid_op 0
		.amdhsa_exception_fp_denorm_src 0
		.amdhsa_exception_fp_ieee_div_zero 0
		.amdhsa_exception_fp_ieee_overflow 0
		.amdhsa_exception_fp_ieee_underflow 0
		.amdhsa_exception_fp_ieee_inexact 0
		.amdhsa_exception_int_div_zero 0
	.end_amdhsa_kernel
	.section	.text._Z21device_test_warp_maskILj54EEvP10TestStatus,"axG",@progbits,_Z21device_test_warp_maskILj54EEvP10TestStatus,comdat
.Lfunc_end103:
	.size	_Z21device_test_warp_maskILj54EEvP10TestStatus, .Lfunc_end103-_Z21device_test_warp_maskILj54EEvP10TestStatus
                                        ; -- End function
	.section	.AMDGPU.csdata,"",@progbits
; Kernel info:
; codeLenInByte = 28
; NumSgprs: 10
; NumVgprs: 2
; NumAgprs: 0
; TotalNumVgprs: 2
; ScratchSize: 0
; MemoryBound: 0
; FloatMode: 240
; IeeeMode: 1
; LDSByteSize: 0 bytes/workgroup (compile time only)
; SGPRBlocks: 1
; VGPRBlocks: 0
; NumSGPRsForWavesPerEU: 10
; NumVGPRsForWavesPerEU: 2
; AccumOffset: 4
; Occupancy: 8
; WaveLimiterHint : 0
; COMPUTE_PGM_RSRC2:SCRATCH_EN: 0
; COMPUTE_PGM_RSRC2:USER_SGPR: 6
; COMPUTE_PGM_RSRC2:TRAP_HANDLER: 0
; COMPUTE_PGM_RSRC2:TGID_X_EN: 1
; COMPUTE_PGM_RSRC2:TGID_Y_EN: 0
; COMPUTE_PGM_RSRC2:TGID_Z_EN: 0
; COMPUTE_PGM_RSRC2:TIDIG_COMP_CNT: 0
; COMPUTE_PGM_RSRC3_GFX90A:ACCUM_OFFSET: 0
; COMPUTE_PGM_RSRC3_GFX90A:TG_SPLIT: 0
	.section	.text._Z21device_test_warp_maskILj55EEvP10TestStatus,"axG",@progbits,_Z21device_test_warp_maskILj55EEvP10TestStatus,comdat
	.protected	_Z21device_test_warp_maskILj55EEvP10TestStatus ; -- Begin function _Z21device_test_warp_maskILj55EEvP10TestStatus
	.globl	_Z21device_test_warp_maskILj55EEvP10TestStatus
	.p2align	8
	.type	_Z21device_test_warp_maskILj55EEvP10TestStatus,@function
_Z21device_test_warp_maskILj55EEvP10TestStatus: ; @_Z21device_test_warp_maskILj55EEvP10TestStatus
; %bb.0:
	s_load_dwordx2 s[0:1], s[4:5], 0x0
	v_mov_b32_e32 v1, 1
	s_waitcnt lgkmcnt(0)
	global_store_byte v0, v1, s[0:1]
	s_endpgm
	.section	.rodata,"a",@progbits
	.p2align	6, 0x0
	.amdhsa_kernel _Z21device_test_warp_maskILj55EEvP10TestStatus
		.amdhsa_group_segment_fixed_size 0
		.amdhsa_private_segment_fixed_size 0
		.amdhsa_kernarg_size 8
		.amdhsa_user_sgpr_count 6
		.amdhsa_user_sgpr_private_segment_buffer 1
		.amdhsa_user_sgpr_dispatch_ptr 0
		.amdhsa_user_sgpr_queue_ptr 0
		.amdhsa_user_sgpr_kernarg_segment_ptr 1
		.amdhsa_user_sgpr_dispatch_id 0
		.amdhsa_user_sgpr_flat_scratch_init 0
		.amdhsa_user_sgpr_kernarg_preload_length 0
		.amdhsa_user_sgpr_kernarg_preload_offset 0
		.amdhsa_user_sgpr_private_segment_size 0
		.amdhsa_uses_dynamic_stack 0
		.amdhsa_system_sgpr_private_segment_wavefront_offset 0
		.amdhsa_system_sgpr_workgroup_id_x 1
		.amdhsa_system_sgpr_workgroup_id_y 0
		.amdhsa_system_sgpr_workgroup_id_z 0
		.amdhsa_system_sgpr_workgroup_info 0
		.amdhsa_system_vgpr_workitem_id 0
		.amdhsa_next_free_vgpr 2
		.amdhsa_next_free_sgpr 6
		.amdhsa_accum_offset 4
		.amdhsa_reserve_vcc 0
		.amdhsa_reserve_flat_scratch 0
		.amdhsa_float_round_mode_32 0
		.amdhsa_float_round_mode_16_64 0
		.amdhsa_float_denorm_mode_32 3
		.amdhsa_float_denorm_mode_16_64 3
		.amdhsa_dx10_clamp 1
		.amdhsa_ieee_mode 1
		.amdhsa_fp16_overflow 0
		.amdhsa_tg_split 0
		.amdhsa_exception_fp_ieee_invalid_op 0
		.amdhsa_exception_fp_denorm_src 0
		.amdhsa_exception_fp_ieee_div_zero 0
		.amdhsa_exception_fp_ieee_overflow 0
		.amdhsa_exception_fp_ieee_underflow 0
		.amdhsa_exception_fp_ieee_inexact 0
		.amdhsa_exception_int_div_zero 0
	.end_amdhsa_kernel
	.section	.text._Z21device_test_warp_maskILj55EEvP10TestStatus,"axG",@progbits,_Z21device_test_warp_maskILj55EEvP10TestStatus,comdat
.Lfunc_end104:
	.size	_Z21device_test_warp_maskILj55EEvP10TestStatus, .Lfunc_end104-_Z21device_test_warp_maskILj55EEvP10TestStatus
                                        ; -- End function
	.section	.AMDGPU.csdata,"",@progbits
; Kernel info:
; codeLenInByte = 28
; NumSgprs: 10
; NumVgprs: 2
; NumAgprs: 0
; TotalNumVgprs: 2
; ScratchSize: 0
; MemoryBound: 0
; FloatMode: 240
; IeeeMode: 1
; LDSByteSize: 0 bytes/workgroup (compile time only)
; SGPRBlocks: 1
; VGPRBlocks: 0
; NumSGPRsForWavesPerEU: 10
; NumVGPRsForWavesPerEU: 2
; AccumOffset: 4
; Occupancy: 8
; WaveLimiterHint : 0
; COMPUTE_PGM_RSRC2:SCRATCH_EN: 0
; COMPUTE_PGM_RSRC2:USER_SGPR: 6
; COMPUTE_PGM_RSRC2:TRAP_HANDLER: 0
; COMPUTE_PGM_RSRC2:TGID_X_EN: 1
; COMPUTE_PGM_RSRC2:TGID_Y_EN: 0
; COMPUTE_PGM_RSRC2:TGID_Z_EN: 0
; COMPUTE_PGM_RSRC2:TIDIG_COMP_CNT: 0
; COMPUTE_PGM_RSRC3_GFX90A:ACCUM_OFFSET: 0
; COMPUTE_PGM_RSRC3_GFX90A:TG_SPLIT: 0
	.section	.text._Z21device_test_warp_maskILj56EEvP10TestStatus,"axG",@progbits,_Z21device_test_warp_maskILj56EEvP10TestStatus,comdat
	.protected	_Z21device_test_warp_maskILj56EEvP10TestStatus ; -- Begin function _Z21device_test_warp_maskILj56EEvP10TestStatus
	.globl	_Z21device_test_warp_maskILj56EEvP10TestStatus
	.p2align	8
	.type	_Z21device_test_warp_maskILj56EEvP10TestStatus,@function
_Z21device_test_warp_maskILj56EEvP10TestStatus: ; @_Z21device_test_warp_maskILj56EEvP10TestStatus
; %bb.0:
	s_load_dwordx2 s[0:1], s[4:5], 0x0
	v_mov_b32_e32 v1, 1
	s_waitcnt lgkmcnt(0)
	global_store_byte v0, v1, s[0:1]
	s_endpgm
	.section	.rodata,"a",@progbits
	.p2align	6, 0x0
	.amdhsa_kernel _Z21device_test_warp_maskILj56EEvP10TestStatus
		.amdhsa_group_segment_fixed_size 0
		.amdhsa_private_segment_fixed_size 0
		.amdhsa_kernarg_size 8
		.amdhsa_user_sgpr_count 6
		.amdhsa_user_sgpr_private_segment_buffer 1
		.amdhsa_user_sgpr_dispatch_ptr 0
		.amdhsa_user_sgpr_queue_ptr 0
		.amdhsa_user_sgpr_kernarg_segment_ptr 1
		.amdhsa_user_sgpr_dispatch_id 0
		.amdhsa_user_sgpr_flat_scratch_init 0
		.amdhsa_user_sgpr_kernarg_preload_length 0
		.amdhsa_user_sgpr_kernarg_preload_offset 0
		.amdhsa_user_sgpr_private_segment_size 0
		.amdhsa_uses_dynamic_stack 0
		.amdhsa_system_sgpr_private_segment_wavefront_offset 0
		.amdhsa_system_sgpr_workgroup_id_x 1
		.amdhsa_system_sgpr_workgroup_id_y 0
		.amdhsa_system_sgpr_workgroup_id_z 0
		.amdhsa_system_sgpr_workgroup_info 0
		.amdhsa_system_vgpr_workitem_id 0
		.amdhsa_next_free_vgpr 2
		.amdhsa_next_free_sgpr 6
		.amdhsa_accum_offset 4
		.amdhsa_reserve_vcc 0
		.amdhsa_reserve_flat_scratch 0
		.amdhsa_float_round_mode_32 0
		.amdhsa_float_round_mode_16_64 0
		.amdhsa_float_denorm_mode_32 3
		.amdhsa_float_denorm_mode_16_64 3
		.amdhsa_dx10_clamp 1
		.amdhsa_ieee_mode 1
		.amdhsa_fp16_overflow 0
		.amdhsa_tg_split 0
		.amdhsa_exception_fp_ieee_invalid_op 0
		.amdhsa_exception_fp_denorm_src 0
		.amdhsa_exception_fp_ieee_div_zero 0
		.amdhsa_exception_fp_ieee_overflow 0
		.amdhsa_exception_fp_ieee_underflow 0
		.amdhsa_exception_fp_ieee_inexact 0
		.amdhsa_exception_int_div_zero 0
	.end_amdhsa_kernel
	.section	.text._Z21device_test_warp_maskILj56EEvP10TestStatus,"axG",@progbits,_Z21device_test_warp_maskILj56EEvP10TestStatus,comdat
.Lfunc_end105:
	.size	_Z21device_test_warp_maskILj56EEvP10TestStatus, .Lfunc_end105-_Z21device_test_warp_maskILj56EEvP10TestStatus
                                        ; -- End function
	.section	.AMDGPU.csdata,"",@progbits
; Kernel info:
; codeLenInByte = 28
; NumSgprs: 10
; NumVgprs: 2
; NumAgprs: 0
; TotalNumVgprs: 2
; ScratchSize: 0
; MemoryBound: 0
; FloatMode: 240
; IeeeMode: 1
; LDSByteSize: 0 bytes/workgroup (compile time only)
; SGPRBlocks: 1
; VGPRBlocks: 0
; NumSGPRsForWavesPerEU: 10
; NumVGPRsForWavesPerEU: 2
; AccumOffset: 4
; Occupancy: 8
; WaveLimiterHint : 0
; COMPUTE_PGM_RSRC2:SCRATCH_EN: 0
; COMPUTE_PGM_RSRC2:USER_SGPR: 6
; COMPUTE_PGM_RSRC2:TRAP_HANDLER: 0
; COMPUTE_PGM_RSRC2:TGID_X_EN: 1
; COMPUTE_PGM_RSRC2:TGID_Y_EN: 0
; COMPUTE_PGM_RSRC2:TGID_Z_EN: 0
; COMPUTE_PGM_RSRC2:TIDIG_COMP_CNT: 0
; COMPUTE_PGM_RSRC3_GFX90A:ACCUM_OFFSET: 0
; COMPUTE_PGM_RSRC3_GFX90A:TG_SPLIT: 0
	.section	.text._Z21device_test_warp_maskILj57EEvP10TestStatus,"axG",@progbits,_Z21device_test_warp_maskILj57EEvP10TestStatus,comdat
	.protected	_Z21device_test_warp_maskILj57EEvP10TestStatus ; -- Begin function _Z21device_test_warp_maskILj57EEvP10TestStatus
	.globl	_Z21device_test_warp_maskILj57EEvP10TestStatus
	.p2align	8
	.type	_Z21device_test_warp_maskILj57EEvP10TestStatus,@function
_Z21device_test_warp_maskILj57EEvP10TestStatus: ; @_Z21device_test_warp_maskILj57EEvP10TestStatus
; %bb.0:
	s_load_dwordx2 s[0:1], s[4:5], 0x0
	v_mov_b32_e32 v1, 1
	s_waitcnt lgkmcnt(0)
	global_store_byte v0, v1, s[0:1]
	s_endpgm
	.section	.rodata,"a",@progbits
	.p2align	6, 0x0
	.amdhsa_kernel _Z21device_test_warp_maskILj57EEvP10TestStatus
		.amdhsa_group_segment_fixed_size 0
		.amdhsa_private_segment_fixed_size 0
		.amdhsa_kernarg_size 8
		.amdhsa_user_sgpr_count 6
		.amdhsa_user_sgpr_private_segment_buffer 1
		.amdhsa_user_sgpr_dispatch_ptr 0
		.amdhsa_user_sgpr_queue_ptr 0
		.amdhsa_user_sgpr_kernarg_segment_ptr 1
		.amdhsa_user_sgpr_dispatch_id 0
		.amdhsa_user_sgpr_flat_scratch_init 0
		.amdhsa_user_sgpr_kernarg_preload_length 0
		.amdhsa_user_sgpr_kernarg_preload_offset 0
		.amdhsa_user_sgpr_private_segment_size 0
		.amdhsa_uses_dynamic_stack 0
		.amdhsa_system_sgpr_private_segment_wavefront_offset 0
		.amdhsa_system_sgpr_workgroup_id_x 1
		.amdhsa_system_sgpr_workgroup_id_y 0
		.amdhsa_system_sgpr_workgroup_id_z 0
		.amdhsa_system_sgpr_workgroup_info 0
		.amdhsa_system_vgpr_workitem_id 0
		.amdhsa_next_free_vgpr 2
		.amdhsa_next_free_sgpr 6
		.amdhsa_accum_offset 4
		.amdhsa_reserve_vcc 0
		.amdhsa_reserve_flat_scratch 0
		.amdhsa_float_round_mode_32 0
		.amdhsa_float_round_mode_16_64 0
		.amdhsa_float_denorm_mode_32 3
		.amdhsa_float_denorm_mode_16_64 3
		.amdhsa_dx10_clamp 1
		.amdhsa_ieee_mode 1
		.amdhsa_fp16_overflow 0
		.amdhsa_tg_split 0
		.amdhsa_exception_fp_ieee_invalid_op 0
		.amdhsa_exception_fp_denorm_src 0
		.amdhsa_exception_fp_ieee_div_zero 0
		.amdhsa_exception_fp_ieee_overflow 0
		.amdhsa_exception_fp_ieee_underflow 0
		.amdhsa_exception_fp_ieee_inexact 0
		.amdhsa_exception_int_div_zero 0
	.end_amdhsa_kernel
	.section	.text._Z21device_test_warp_maskILj57EEvP10TestStatus,"axG",@progbits,_Z21device_test_warp_maskILj57EEvP10TestStatus,comdat
.Lfunc_end106:
	.size	_Z21device_test_warp_maskILj57EEvP10TestStatus, .Lfunc_end106-_Z21device_test_warp_maskILj57EEvP10TestStatus
                                        ; -- End function
	.section	.AMDGPU.csdata,"",@progbits
; Kernel info:
; codeLenInByte = 28
; NumSgprs: 10
; NumVgprs: 2
; NumAgprs: 0
; TotalNumVgprs: 2
; ScratchSize: 0
; MemoryBound: 0
; FloatMode: 240
; IeeeMode: 1
; LDSByteSize: 0 bytes/workgroup (compile time only)
; SGPRBlocks: 1
; VGPRBlocks: 0
; NumSGPRsForWavesPerEU: 10
; NumVGPRsForWavesPerEU: 2
; AccumOffset: 4
; Occupancy: 8
; WaveLimiterHint : 0
; COMPUTE_PGM_RSRC2:SCRATCH_EN: 0
; COMPUTE_PGM_RSRC2:USER_SGPR: 6
; COMPUTE_PGM_RSRC2:TRAP_HANDLER: 0
; COMPUTE_PGM_RSRC2:TGID_X_EN: 1
; COMPUTE_PGM_RSRC2:TGID_Y_EN: 0
; COMPUTE_PGM_RSRC2:TGID_Z_EN: 0
; COMPUTE_PGM_RSRC2:TIDIG_COMP_CNT: 0
; COMPUTE_PGM_RSRC3_GFX90A:ACCUM_OFFSET: 0
; COMPUTE_PGM_RSRC3_GFX90A:TG_SPLIT: 0
	.section	.text._Z21device_test_warp_maskILj58EEvP10TestStatus,"axG",@progbits,_Z21device_test_warp_maskILj58EEvP10TestStatus,comdat
	.protected	_Z21device_test_warp_maskILj58EEvP10TestStatus ; -- Begin function _Z21device_test_warp_maskILj58EEvP10TestStatus
	.globl	_Z21device_test_warp_maskILj58EEvP10TestStatus
	.p2align	8
	.type	_Z21device_test_warp_maskILj58EEvP10TestStatus,@function
_Z21device_test_warp_maskILj58EEvP10TestStatus: ; @_Z21device_test_warp_maskILj58EEvP10TestStatus
; %bb.0:
	s_load_dwordx2 s[0:1], s[4:5], 0x0
	v_mov_b32_e32 v1, 1
	s_waitcnt lgkmcnt(0)
	global_store_byte v0, v1, s[0:1]
	s_endpgm
	.section	.rodata,"a",@progbits
	.p2align	6, 0x0
	.amdhsa_kernel _Z21device_test_warp_maskILj58EEvP10TestStatus
		.amdhsa_group_segment_fixed_size 0
		.amdhsa_private_segment_fixed_size 0
		.amdhsa_kernarg_size 8
		.amdhsa_user_sgpr_count 6
		.amdhsa_user_sgpr_private_segment_buffer 1
		.amdhsa_user_sgpr_dispatch_ptr 0
		.amdhsa_user_sgpr_queue_ptr 0
		.amdhsa_user_sgpr_kernarg_segment_ptr 1
		.amdhsa_user_sgpr_dispatch_id 0
		.amdhsa_user_sgpr_flat_scratch_init 0
		.amdhsa_user_sgpr_kernarg_preload_length 0
		.amdhsa_user_sgpr_kernarg_preload_offset 0
		.amdhsa_user_sgpr_private_segment_size 0
		.amdhsa_uses_dynamic_stack 0
		.amdhsa_system_sgpr_private_segment_wavefront_offset 0
		.amdhsa_system_sgpr_workgroup_id_x 1
		.amdhsa_system_sgpr_workgroup_id_y 0
		.amdhsa_system_sgpr_workgroup_id_z 0
		.amdhsa_system_sgpr_workgroup_info 0
		.amdhsa_system_vgpr_workitem_id 0
		.amdhsa_next_free_vgpr 2
		.amdhsa_next_free_sgpr 6
		.amdhsa_accum_offset 4
		.amdhsa_reserve_vcc 0
		.amdhsa_reserve_flat_scratch 0
		.amdhsa_float_round_mode_32 0
		.amdhsa_float_round_mode_16_64 0
		.amdhsa_float_denorm_mode_32 3
		.amdhsa_float_denorm_mode_16_64 3
		.amdhsa_dx10_clamp 1
		.amdhsa_ieee_mode 1
		.amdhsa_fp16_overflow 0
		.amdhsa_tg_split 0
		.amdhsa_exception_fp_ieee_invalid_op 0
		.amdhsa_exception_fp_denorm_src 0
		.amdhsa_exception_fp_ieee_div_zero 0
		.amdhsa_exception_fp_ieee_overflow 0
		.amdhsa_exception_fp_ieee_underflow 0
		.amdhsa_exception_fp_ieee_inexact 0
		.amdhsa_exception_int_div_zero 0
	.end_amdhsa_kernel
	.section	.text._Z21device_test_warp_maskILj58EEvP10TestStatus,"axG",@progbits,_Z21device_test_warp_maskILj58EEvP10TestStatus,comdat
.Lfunc_end107:
	.size	_Z21device_test_warp_maskILj58EEvP10TestStatus, .Lfunc_end107-_Z21device_test_warp_maskILj58EEvP10TestStatus
                                        ; -- End function
	.section	.AMDGPU.csdata,"",@progbits
; Kernel info:
; codeLenInByte = 28
; NumSgprs: 10
; NumVgprs: 2
; NumAgprs: 0
; TotalNumVgprs: 2
; ScratchSize: 0
; MemoryBound: 0
; FloatMode: 240
; IeeeMode: 1
; LDSByteSize: 0 bytes/workgroup (compile time only)
; SGPRBlocks: 1
; VGPRBlocks: 0
; NumSGPRsForWavesPerEU: 10
; NumVGPRsForWavesPerEU: 2
; AccumOffset: 4
; Occupancy: 8
; WaveLimiterHint : 0
; COMPUTE_PGM_RSRC2:SCRATCH_EN: 0
; COMPUTE_PGM_RSRC2:USER_SGPR: 6
; COMPUTE_PGM_RSRC2:TRAP_HANDLER: 0
; COMPUTE_PGM_RSRC2:TGID_X_EN: 1
; COMPUTE_PGM_RSRC2:TGID_Y_EN: 0
; COMPUTE_PGM_RSRC2:TGID_Z_EN: 0
; COMPUTE_PGM_RSRC2:TIDIG_COMP_CNT: 0
; COMPUTE_PGM_RSRC3_GFX90A:ACCUM_OFFSET: 0
; COMPUTE_PGM_RSRC3_GFX90A:TG_SPLIT: 0
	.section	.text._Z21device_test_warp_maskILj59EEvP10TestStatus,"axG",@progbits,_Z21device_test_warp_maskILj59EEvP10TestStatus,comdat
	.protected	_Z21device_test_warp_maskILj59EEvP10TestStatus ; -- Begin function _Z21device_test_warp_maskILj59EEvP10TestStatus
	.globl	_Z21device_test_warp_maskILj59EEvP10TestStatus
	.p2align	8
	.type	_Z21device_test_warp_maskILj59EEvP10TestStatus,@function
_Z21device_test_warp_maskILj59EEvP10TestStatus: ; @_Z21device_test_warp_maskILj59EEvP10TestStatus
; %bb.0:
	s_load_dwordx2 s[0:1], s[4:5], 0x0
	v_mov_b32_e32 v1, 1
	s_waitcnt lgkmcnt(0)
	global_store_byte v0, v1, s[0:1]
	s_endpgm
	.section	.rodata,"a",@progbits
	.p2align	6, 0x0
	.amdhsa_kernel _Z21device_test_warp_maskILj59EEvP10TestStatus
		.amdhsa_group_segment_fixed_size 0
		.amdhsa_private_segment_fixed_size 0
		.amdhsa_kernarg_size 8
		.amdhsa_user_sgpr_count 6
		.amdhsa_user_sgpr_private_segment_buffer 1
		.amdhsa_user_sgpr_dispatch_ptr 0
		.amdhsa_user_sgpr_queue_ptr 0
		.amdhsa_user_sgpr_kernarg_segment_ptr 1
		.amdhsa_user_sgpr_dispatch_id 0
		.amdhsa_user_sgpr_flat_scratch_init 0
		.amdhsa_user_sgpr_kernarg_preload_length 0
		.amdhsa_user_sgpr_kernarg_preload_offset 0
		.amdhsa_user_sgpr_private_segment_size 0
		.amdhsa_uses_dynamic_stack 0
		.amdhsa_system_sgpr_private_segment_wavefront_offset 0
		.amdhsa_system_sgpr_workgroup_id_x 1
		.amdhsa_system_sgpr_workgroup_id_y 0
		.amdhsa_system_sgpr_workgroup_id_z 0
		.amdhsa_system_sgpr_workgroup_info 0
		.amdhsa_system_vgpr_workitem_id 0
		.amdhsa_next_free_vgpr 2
		.amdhsa_next_free_sgpr 6
		.amdhsa_accum_offset 4
		.amdhsa_reserve_vcc 0
		.amdhsa_reserve_flat_scratch 0
		.amdhsa_float_round_mode_32 0
		.amdhsa_float_round_mode_16_64 0
		.amdhsa_float_denorm_mode_32 3
		.amdhsa_float_denorm_mode_16_64 3
		.amdhsa_dx10_clamp 1
		.amdhsa_ieee_mode 1
		.amdhsa_fp16_overflow 0
		.amdhsa_tg_split 0
		.amdhsa_exception_fp_ieee_invalid_op 0
		.amdhsa_exception_fp_denorm_src 0
		.amdhsa_exception_fp_ieee_div_zero 0
		.amdhsa_exception_fp_ieee_overflow 0
		.amdhsa_exception_fp_ieee_underflow 0
		.amdhsa_exception_fp_ieee_inexact 0
		.amdhsa_exception_int_div_zero 0
	.end_amdhsa_kernel
	.section	.text._Z21device_test_warp_maskILj59EEvP10TestStatus,"axG",@progbits,_Z21device_test_warp_maskILj59EEvP10TestStatus,comdat
.Lfunc_end108:
	.size	_Z21device_test_warp_maskILj59EEvP10TestStatus, .Lfunc_end108-_Z21device_test_warp_maskILj59EEvP10TestStatus
                                        ; -- End function
	.section	.AMDGPU.csdata,"",@progbits
; Kernel info:
; codeLenInByte = 28
; NumSgprs: 10
; NumVgprs: 2
; NumAgprs: 0
; TotalNumVgprs: 2
; ScratchSize: 0
; MemoryBound: 0
; FloatMode: 240
; IeeeMode: 1
; LDSByteSize: 0 bytes/workgroup (compile time only)
; SGPRBlocks: 1
; VGPRBlocks: 0
; NumSGPRsForWavesPerEU: 10
; NumVGPRsForWavesPerEU: 2
; AccumOffset: 4
; Occupancy: 8
; WaveLimiterHint : 0
; COMPUTE_PGM_RSRC2:SCRATCH_EN: 0
; COMPUTE_PGM_RSRC2:USER_SGPR: 6
; COMPUTE_PGM_RSRC2:TRAP_HANDLER: 0
; COMPUTE_PGM_RSRC2:TGID_X_EN: 1
; COMPUTE_PGM_RSRC2:TGID_Y_EN: 0
; COMPUTE_PGM_RSRC2:TGID_Z_EN: 0
; COMPUTE_PGM_RSRC2:TIDIG_COMP_CNT: 0
; COMPUTE_PGM_RSRC3_GFX90A:ACCUM_OFFSET: 0
; COMPUTE_PGM_RSRC3_GFX90A:TG_SPLIT: 0
	.section	.text._Z21device_test_warp_maskILj60EEvP10TestStatus,"axG",@progbits,_Z21device_test_warp_maskILj60EEvP10TestStatus,comdat
	.protected	_Z21device_test_warp_maskILj60EEvP10TestStatus ; -- Begin function _Z21device_test_warp_maskILj60EEvP10TestStatus
	.globl	_Z21device_test_warp_maskILj60EEvP10TestStatus
	.p2align	8
	.type	_Z21device_test_warp_maskILj60EEvP10TestStatus,@function
_Z21device_test_warp_maskILj60EEvP10TestStatus: ; @_Z21device_test_warp_maskILj60EEvP10TestStatus
; %bb.0:
	s_load_dwordx2 s[0:1], s[4:5], 0x0
	v_mov_b32_e32 v1, 1
	s_waitcnt lgkmcnt(0)
	global_store_byte v0, v1, s[0:1]
	s_endpgm
	.section	.rodata,"a",@progbits
	.p2align	6, 0x0
	.amdhsa_kernel _Z21device_test_warp_maskILj60EEvP10TestStatus
		.amdhsa_group_segment_fixed_size 0
		.amdhsa_private_segment_fixed_size 0
		.amdhsa_kernarg_size 8
		.amdhsa_user_sgpr_count 6
		.amdhsa_user_sgpr_private_segment_buffer 1
		.amdhsa_user_sgpr_dispatch_ptr 0
		.amdhsa_user_sgpr_queue_ptr 0
		.amdhsa_user_sgpr_kernarg_segment_ptr 1
		.amdhsa_user_sgpr_dispatch_id 0
		.amdhsa_user_sgpr_flat_scratch_init 0
		.amdhsa_user_sgpr_kernarg_preload_length 0
		.amdhsa_user_sgpr_kernarg_preload_offset 0
		.amdhsa_user_sgpr_private_segment_size 0
		.amdhsa_uses_dynamic_stack 0
		.amdhsa_system_sgpr_private_segment_wavefront_offset 0
		.amdhsa_system_sgpr_workgroup_id_x 1
		.amdhsa_system_sgpr_workgroup_id_y 0
		.amdhsa_system_sgpr_workgroup_id_z 0
		.amdhsa_system_sgpr_workgroup_info 0
		.amdhsa_system_vgpr_workitem_id 0
		.amdhsa_next_free_vgpr 2
		.amdhsa_next_free_sgpr 6
		.amdhsa_accum_offset 4
		.amdhsa_reserve_vcc 0
		.amdhsa_reserve_flat_scratch 0
		.amdhsa_float_round_mode_32 0
		.amdhsa_float_round_mode_16_64 0
		.amdhsa_float_denorm_mode_32 3
		.amdhsa_float_denorm_mode_16_64 3
		.amdhsa_dx10_clamp 1
		.amdhsa_ieee_mode 1
		.amdhsa_fp16_overflow 0
		.amdhsa_tg_split 0
		.amdhsa_exception_fp_ieee_invalid_op 0
		.amdhsa_exception_fp_denorm_src 0
		.amdhsa_exception_fp_ieee_div_zero 0
		.amdhsa_exception_fp_ieee_overflow 0
		.amdhsa_exception_fp_ieee_underflow 0
		.amdhsa_exception_fp_ieee_inexact 0
		.amdhsa_exception_int_div_zero 0
	.end_amdhsa_kernel
	.section	.text._Z21device_test_warp_maskILj60EEvP10TestStatus,"axG",@progbits,_Z21device_test_warp_maskILj60EEvP10TestStatus,comdat
.Lfunc_end109:
	.size	_Z21device_test_warp_maskILj60EEvP10TestStatus, .Lfunc_end109-_Z21device_test_warp_maskILj60EEvP10TestStatus
                                        ; -- End function
	.section	.AMDGPU.csdata,"",@progbits
; Kernel info:
; codeLenInByte = 28
; NumSgprs: 10
; NumVgprs: 2
; NumAgprs: 0
; TotalNumVgprs: 2
; ScratchSize: 0
; MemoryBound: 0
; FloatMode: 240
; IeeeMode: 1
; LDSByteSize: 0 bytes/workgroup (compile time only)
; SGPRBlocks: 1
; VGPRBlocks: 0
; NumSGPRsForWavesPerEU: 10
; NumVGPRsForWavesPerEU: 2
; AccumOffset: 4
; Occupancy: 8
; WaveLimiterHint : 0
; COMPUTE_PGM_RSRC2:SCRATCH_EN: 0
; COMPUTE_PGM_RSRC2:USER_SGPR: 6
; COMPUTE_PGM_RSRC2:TRAP_HANDLER: 0
; COMPUTE_PGM_RSRC2:TGID_X_EN: 1
; COMPUTE_PGM_RSRC2:TGID_Y_EN: 0
; COMPUTE_PGM_RSRC2:TGID_Z_EN: 0
; COMPUTE_PGM_RSRC2:TIDIG_COMP_CNT: 0
; COMPUTE_PGM_RSRC3_GFX90A:ACCUM_OFFSET: 0
; COMPUTE_PGM_RSRC3_GFX90A:TG_SPLIT: 0
	.section	.text._Z21device_test_warp_maskILj61EEvP10TestStatus,"axG",@progbits,_Z21device_test_warp_maskILj61EEvP10TestStatus,comdat
	.protected	_Z21device_test_warp_maskILj61EEvP10TestStatus ; -- Begin function _Z21device_test_warp_maskILj61EEvP10TestStatus
	.globl	_Z21device_test_warp_maskILj61EEvP10TestStatus
	.p2align	8
	.type	_Z21device_test_warp_maskILj61EEvP10TestStatus,@function
_Z21device_test_warp_maskILj61EEvP10TestStatus: ; @_Z21device_test_warp_maskILj61EEvP10TestStatus
; %bb.0:
	s_load_dwordx2 s[0:1], s[4:5], 0x0
	v_mov_b32_e32 v1, 1
	s_waitcnt lgkmcnt(0)
	global_store_byte v0, v1, s[0:1]
	s_endpgm
	.section	.rodata,"a",@progbits
	.p2align	6, 0x0
	.amdhsa_kernel _Z21device_test_warp_maskILj61EEvP10TestStatus
		.amdhsa_group_segment_fixed_size 0
		.amdhsa_private_segment_fixed_size 0
		.amdhsa_kernarg_size 8
		.amdhsa_user_sgpr_count 6
		.amdhsa_user_sgpr_private_segment_buffer 1
		.amdhsa_user_sgpr_dispatch_ptr 0
		.amdhsa_user_sgpr_queue_ptr 0
		.amdhsa_user_sgpr_kernarg_segment_ptr 1
		.amdhsa_user_sgpr_dispatch_id 0
		.amdhsa_user_sgpr_flat_scratch_init 0
		.amdhsa_user_sgpr_kernarg_preload_length 0
		.amdhsa_user_sgpr_kernarg_preload_offset 0
		.amdhsa_user_sgpr_private_segment_size 0
		.amdhsa_uses_dynamic_stack 0
		.amdhsa_system_sgpr_private_segment_wavefront_offset 0
		.amdhsa_system_sgpr_workgroup_id_x 1
		.amdhsa_system_sgpr_workgroup_id_y 0
		.amdhsa_system_sgpr_workgroup_id_z 0
		.amdhsa_system_sgpr_workgroup_info 0
		.amdhsa_system_vgpr_workitem_id 0
		.amdhsa_next_free_vgpr 2
		.amdhsa_next_free_sgpr 6
		.amdhsa_accum_offset 4
		.amdhsa_reserve_vcc 0
		.amdhsa_reserve_flat_scratch 0
		.amdhsa_float_round_mode_32 0
		.amdhsa_float_round_mode_16_64 0
		.amdhsa_float_denorm_mode_32 3
		.amdhsa_float_denorm_mode_16_64 3
		.amdhsa_dx10_clamp 1
		.amdhsa_ieee_mode 1
		.amdhsa_fp16_overflow 0
		.amdhsa_tg_split 0
		.amdhsa_exception_fp_ieee_invalid_op 0
		.amdhsa_exception_fp_denorm_src 0
		.amdhsa_exception_fp_ieee_div_zero 0
		.amdhsa_exception_fp_ieee_overflow 0
		.amdhsa_exception_fp_ieee_underflow 0
		.amdhsa_exception_fp_ieee_inexact 0
		.amdhsa_exception_int_div_zero 0
	.end_amdhsa_kernel
	.section	.text._Z21device_test_warp_maskILj61EEvP10TestStatus,"axG",@progbits,_Z21device_test_warp_maskILj61EEvP10TestStatus,comdat
.Lfunc_end110:
	.size	_Z21device_test_warp_maskILj61EEvP10TestStatus, .Lfunc_end110-_Z21device_test_warp_maskILj61EEvP10TestStatus
                                        ; -- End function
	.section	.AMDGPU.csdata,"",@progbits
; Kernel info:
; codeLenInByte = 28
; NumSgprs: 10
; NumVgprs: 2
; NumAgprs: 0
; TotalNumVgprs: 2
; ScratchSize: 0
; MemoryBound: 0
; FloatMode: 240
; IeeeMode: 1
; LDSByteSize: 0 bytes/workgroup (compile time only)
; SGPRBlocks: 1
; VGPRBlocks: 0
; NumSGPRsForWavesPerEU: 10
; NumVGPRsForWavesPerEU: 2
; AccumOffset: 4
; Occupancy: 8
; WaveLimiterHint : 0
; COMPUTE_PGM_RSRC2:SCRATCH_EN: 0
; COMPUTE_PGM_RSRC2:USER_SGPR: 6
; COMPUTE_PGM_RSRC2:TRAP_HANDLER: 0
; COMPUTE_PGM_RSRC2:TGID_X_EN: 1
; COMPUTE_PGM_RSRC2:TGID_Y_EN: 0
; COMPUTE_PGM_RSRC2:TGID_Z_EN: 0
; COMPUTE_PGM_RSRC2:TIDIG_COMP_CNT: 0
; COMPUTE_PGM_RSRC3_GFX90A:ACCUM_OFFSET: 0
; COMPUTE_PGM_RSRC3_GFX90A:TG_SPLIT: 0
	.section	.text._Z21device_test_warp_maskILj62EEvP10TestStatus,"axG",@progbits,_Z21device_test_warp_maskILj62EEvP10TestStatus,comdat
	.protected	_Z21device_test_warp_maskILj62EEvP10TestStatus ; -- Begin function _Z21device_test_warp_maskILj62EEvP10TestStatus
	.globl	_Z21device_test_warp_maskILj62EEvP10TestStatus
	.p2align	8
	.type	_Z21device_test_warp_maskILj62EEvP10TestStatus,@function
_Z21device_test_warp_maskILj62EEvP10TestStatus: ; @_Z21device_test_warp_maskILj62EEvP10TestStatus
; %bb.0:
	s_load_dwordx2 s[0:1], s[4:5], 0x0
	v_mov_b32_e32 v1, 1
	s_waitcnt lgkmcnt(0)
	global_store_byte v0, v1, s[0:1]
	s_endpgm
	.section	.rodata,"a",@progbits
	.p2align	6, 0x0
	.amdhsa_kernel _Z21device_test_warp_maskILj62EEvP10TestStatus
		.amdhsa_group_segment_fixed_size 0
		.amdhsa_private_segment_fixed_size 0
		.amdhsa_kernarg_size 8
		.amdhsa_user_sgpr_count 6
		.amdhsa_user_sgpr_private_segment_buffer 1
		.amdhsa_user_sgpr_dispatch_ptr 0
		.amdhsa_user_sgpr_queue_ptr 0
		.amdhsa_user_sgpr_kernarg_segment_ptr 1
		.amdhsa_user_sgpr_dispatch_id 0
		.amdhsa_user_sgpr_flat_scratch_init 0
		.amdhsa_user_sgpr_kernarg_preload_length 0
		.amdhsa_user_sgpr_kernarg_preload_offset 0
		.amdhsa_user_sgpr_private_segment_size 0
		.amdhsa_uses_dynamic_stack 0
		.amdhsa_system_sgpr_private_segment_wavefront_offset 0
		.amdhsa_system_sgpr_workgroup_id_x 1
		.amdhsa_system_sgpr_workgroup_id_y 0
		.amdhsa_system_sgpr_workgroup_id_z 0
		.amdhsa_system_sgpr_workgroup_info 0
		.amdhsa_system_vgpr_workitem_id 0
		.amdhsa_next_free_vgpr 2
		.amdhsa_next_free_sgpr 6
		.amdhsa_accum_offset 4
		.amdhsa_reserve_vcc 0
		.amdhsa_reserve_flat_scratch 0
		.amdhsa_float_round_mode_32 0
		.amdhsa_float_round_mode_16_64 0
		.amdhsa_float_denorm_mode_32 3
		.amdhsa_float_denorm_mode_16_64 3
		.amdhsa_dx10_clamp 1
		.amdhsa_ieee_mode 1
		.amdhsa_fp16_overflow 0
		.amdhsa_tg_split 0
		.amdhsa_exception_fp_ieee_invalid_op 0
		.amdhsa_exception_fp_denorm_src 0
		.amdhsa_exception_fp_ieee_div_zero 0
		.amdhsa_exception_fp_ieee_overflow 0
		.amdhsa_exception_fp_ieee_underflow 0
		.amdhsa_exception_fp_ieee_inexact 0
		.amdhsa_exception_int_div_zero 0
	.end_amdhsa_kernel
	.section	.text._Z21device_test_warp_maskILj62EEvP10TestStatus,"axG",@progbits,_Z21device_test_warp_maskILj62EEvP10TestStatus,comdat
.Lfunc_end111:
	.size	_Z21device_test_warp_maskILj62EEvP10TestStatus, .Lfunc_end111-_Z21device_test_warp_maskILj62EEvP10TestStatus
                                        ; -- End function
	.section	.AMDGPU.csdata,"",@progbits
; Kernel info:
; codeLenInByte = 28
; NumSgprs: 10
; NumVgprs: 2
; NumAgprs: 0
; TotalNumVgprs: 2
; ScratchSize: 0
; MemoryBound: 0
; FloatMode: 240
; IeeeMode: 1
; LDSByteSize: 0 bytes/workgroup (compile time only)
; SGPRBlocks: 1
; VGPRBlocks: 0
; NumSGPRsForWavesPerEU: 10
; NumVGPRsForWavesPerEU: 2
; AccumOffset: 4
; Occupancy: 8
; WaveLimiterHint : 0
; COMPUTE_PGM_RSRC2:SCRATCH_EN: 0
; COMPUTE_PGM_RSRC2:USER_SGPR: 6
; COMPUTE_PGM_RSRC2:TRAP_HANDLER: 0
; COMPUTE_PGM_RSRC2:TGID_X_EN: 1
; COMPUTE_PGM_RSRC2:TGID_Y_EN: 0
; COMPUTE_PGM_RSRC2:TGID_Z_EN: 0
; COMPUTE_PGM_RSRC2:TIDIG_COMP_CNT: 0
; COMPUTE_PGM_RSRC3_GFX90A:ACCUM_OFFSET: 0
; COMPUTE_PGM_RSRC3_GFX90A:TG_SPLIT: 0
	.section	.text._Z21device_test_warp_maskILj63EEvP10TestStatus,"axG",@progbits,_Z21device_test_warp_maskILj63EEvP10TestStatus,comdat
	.protected	_Z21device_test_warp_maskILj63EEvP10TestStatus ; -- Begin function _Z21device_test_warp_maskILj63EEvP10TestStatus
	.globl	_Z21device_test_warp_maskILj63EEvP10TestStatus
	.p2align	8
	.type	_Z21device_test_warp_maskILj63EEvP10TestStatus,@function
_Z21device_test_warp_maskILj63EEvP10TestStatus: ; @_Z21device_test_warp_maskILj63EEvP10TestStatus
; %bb.0:
	s_load_dwordx2 s[0:1], s[4:5], 0x0
	v_mov_b32_e32 v1, 1
	s_waitcnt lgkmcnt(0)
	global_store_byte v0, v1, s[0:1]
	s_endpgm
	.section	.rodata,"a",@progbits
	.p2align	6, 0x0
	.amdhsa_kernel _Z21device_test_warp_maskILj63EEvP10TestStatus
		.amdhsa_group_segment_fixed_size 0
		.amdhsa_private_segment_fixed_size 0
		.amdhsa_kernarg_size 8
		.amdhsa_user_sgpr_count 6
		.amdhsa_user_sgpr_private_segment_buffer 1
		.amdhsa_user_sgpr_dispatch_ptr 0
		.amdhsa_user_sgpr_queue_ptr 0
		.amdhsa_user_sgpr_kernarg_segment_ptr 1
		.amdhsa_user_sgpr_dispatch_id 0
		.amdhsa_user_sgpr_flat_scratch_init 0
		.amdhsa_user_sgpr_kernarg_preload_length 0
		.amdhsa_user_sgpr_kernarg_preload_offset 0
		.amdhsa_user_sgpr_private_segment_size 0
		.amdhsa_uses_dynamic_stack 0
		.amdhsa_system_sgpr_private_segment_wavefront_offset 0
		.amdhsa_system_sgpr_workgroup_id_x 1
		.amdhsa_system_sgpr_workgroup_id_y 0
		.amdhsa_system_sgpr_workgroup_id_z 0
		.amdhsa_system_sgpr_workgroup_info 0
		.amdhsa_system_vgpr_workitem_id 0
		.amdhsa_next_free_vgpr 2
		.amdhsa_next_free_sgpr 6
		.amdhsa_accum_offset 4
		.amdhsa_reserve_vcc 0
		.amdhsa_reserve_flat_scratch 0
		.amdhsa_float_round_mode_32 0
		.amdhsa_float_round_mode_16_64 0
		.amdhsa_float_denorm_mode_32 3
		.amdhsa_float_denorm_mode_16_64 3
		.amdhsa_dx10_clamp 1
		.amdhsa_ieee_mode 1
		.amdhsa_fp16_overflow 0
		.amdhsa_tg_split 0
		.amdhsa_exception_fp_ieee_invalid_op 0
		.amdhsa_exception_fp_denorm_src 0
		.amdhsa_exception_fp_ieee_div_zero 0
		.amdhsa_exception_fp_ieee_overflow 0
		.amdhsa_exception_fp_ieee_underflow 0
		.amdhsa_exception_fp_ieee_inexact 0
		.amdhsa_exception_int_div_zero 0
	.end_amdhsa_kernel
	.section	.text._Z21device_test_warp_maskILj63EEvP10TestStatus,"axG",@progbits,_Z21device_test_warp_maskILj63EEvP10TestStatus,comdat
.Lfunc_end112:
	.size	_Z21device_test_warp_maskILj63EEvP10TestStatus, .Lfunc_end112-_Z21device_test_warp_maskILj63EEvP10TestStatus
                                        ; -- End function
	.section	.AMDGPU.csdata,"",@progbits
; Kernel info:
; codeLenInByte = 28
; NumSgprs: 10
; NumVgprs: 2
; NumAgprs: 0
; TotalNumVgprs: 2
; ScratchSize: 0
; MemoryBound: 0
; FloatMode: 240
; IeeeMode: 1
; LDSByteSize: 0 bytes/workgroup (compile time only)
; SGPRBlocks: 1
; VGPRBlocks: 0
; NumSGPRsForWavesPerEU: 10
; NumVGPRsForWavesPerEU: 2
; AccumOffset: 4
; Occupancy: 8
; WaveLimiterHint : 0
; COMPUTE_PGM_RSRC2:SCRATCH_EN: 0
; COMPUTE_PGM_RSRC2:USER_SGPR: 6
; COMPUTE_PGM_RSRC2:TRAP_HANDLER: 0
; COMPUTE_PGM_RSRC2:TGID_X_EN: 1
; COMPUTE_PGM_RSRC2:TGID_Y_EN: 0
; COMPUTE_PGM_RSRC2:TGID_Z_EN: 0
; COMPUTE_PGM_RSRC2:TIDIG_COMP_CNT: 0
; COMPUTE_PGM_RSRC3_GFX90A:ACCUM_OFFSET: 0
; COMPUTE_PGM_RSRC3_GFX90A:TG_SPLIT: 0
	.section	.text._Z21device_test_warp_maskILj64EEvP10TestStatus,"axG",@progbits,_Z21device_test_warp_maskILj64EEvP10TestStatus,comdat
	.protected	_Z21device_test_warp_maskILj64EEvP10TestStatus ; -- Begin function _Z21device_test_warp_maskILj64EEvP10TestStatus
	.globl	_Z21device_test_warp_maskILj64EEvP10TestStatus
	.p2align	8
	.type	_Z21device_test_warp_maskILj64EEvP10TestStatus,@function
_Z21device_test_warp_maskILj64EEvP10TestStatus: ; @_Z21device_test_warp_maskILj64EEvP10TestStatus
; %bb.0:
	s_load_dwordx2 s[0:1], s[4:5], 0x0
	v_mbcnt_lo_u32_b32 v1, -1, 0
	v_mbcnt_hi_u32_b32 v1, -1, v1
	v_cmp_gt_u32_e32 vcc, 64, v1
	v_cndmask_b32_e64 v1, 0, 1, vcc
	s_waitcnt lgkmcnt(0)
	global_store_byte v0, v1, s[0:1]
	s_endpgm
	.section	.rodata,"a",@progbits
	.p2align	6, 0x0
	.amdhsa_kernel _Z21device_test_warp_maskILj64EEvP10TestStatus
		.amdhsa_group_segment_fixed_size 0
		.amdhsa_private_segment_fixed_size 0
		.amdhsa_kernarg_size 8
		.amdhsa_user_sgpr_count 6
		.amdhsa_user_sgpr_private_segment_buffer 1
		.amdhsa_user_sgpr_dispatch_ptr 0
		.amdhsa_user_sgpr_queue_ptr 0
		.amdhsa_user_sgpr_kernarg_segment_ptr 1
		.amdhsa_user_sgpr_dispatch_id 0
		.amdhsa_user_sgpr_flat_scratch_init 0
		.amdhsa_user_sgpr_kernarg_preload_length 0
		.amdhsa_user_sgpr_kernarg_preload_offset 0
		.amdhsa_user_sgpr_private_segment_size 0
		.amdhsa_uses_dynamic_stack 0
		.amdhsa_system_sgpr_private_segment_wavefront_offset 0
		.amdhsa_system_sgpr_workgroup_id_x 1
		.amdhsa_system_sgpr_workgroup_id_y 0
		.amdhsa_system_sgpr_workgroup_id_z 0
		.amdhsa_system_sgpr_workgroup_info 0
		.amdhsa_system_vgpr_workitem_id 0
		.amdhsa_next_free_vgpr 2
		.amdhsa_next_free_sgpr 6
		.amdhsa_accum_offset 4
		.amdhsa_reserve_vcc 1
		.amdhsa_reserve_flat_scratch 0
		.amdhsa_float_round_mode_32 0
		.amdhsa_float_round_mode_16_64 0
		.amdhsa_float_denorm_mode_32 3
		.amdhsa_float_denorm_mode_16_64 3
		.amdhsa_dx10_clamp 1
		.amdhsa_ieee_mode 1
		.amdhsa_fp16_overflow 0
		.amdhsa_tg_split 0
		.amdhsa_exception_fp_ieee_invalid_op 0
		.amdhsa_exception_fp_denorm_src 0
		.amdhsa_exception_fp_ieee_div_zero 0
		.amdhsa_exception_fp_ieee_overflow 0
		.amdhsa_exception_fp_ieee_underflow 0
		.amdhsa_exception_fp_ieee_inexact 0
		.amdhsa_exception_int_div_zero 0
	.end_amdhsa_kernel
	.section	.text._Z21device_test_warp_maskILj64EEvP10TestStatus,"axG",@progbits,_Z21device_test_warp_maskILj64EEvP10TestStatus,comdat
.Lfunc_end113:
	.size	_Z21device_test_warp_maskILj64EEvP10TestStatus, .Lfunc_end113-_Z21device_test_warp_maskILj64EEvP10TestStatus
                                        ; -- End function
	.section	.AMDGPU.csdata,"",@progbits
; Kernel info:
; codeLenInByte = 52
; NumSgprs: 10
; NumVgprs: 2
; NumAgprs: 0
; TotalNumVgprs: 2
; ScratchSize: 0
; MemoryBound: 0
; FloatMode: 240
; IeeeMode: 1
; LDSByteSize: 0 bytes/workgroup (compile time only)
; SGPRBlocks: 1
; VGPRBlocks: 0
; NumSGPRsForWavesPerEU: 10
; NumVGPRsForWavesPerEU: 2
; AccumOffset: 4
; Occupancy: 8
; WaveLimiterHint : 0
; COMPUTE_PGM_RSRC2:SCRATCH_EN: 0
; COMPUTE_PGM_RSRC2:USER_SGPR: 6
; COMPUTE_PGM_RSRC2:TRAP_HANDLER: 0
; COMPUTE_PGM_RSRC2:TGID_X_EN: 1
; COMPUTE_PGM_RSRC2:TGID_Y_EN: 0
; COMPUTE_PGM_RSRC2:TGID_Z_EN: 0
; COMPUTE_PGM_RSRC2:TIDIG_COMP_CNT: 0
; COMPUTE_PGM_RSRC3_GFX90A:ACCUM_OFFSET: 0
; COMPUTE_PGM_RSRC3_GFX90A:TG_SPLIT: 0
	.text
	.p2alignl 6, 3212836864
	.fill 256, 4, 3212836864
	.type	__hip_cuid_d7d965ed02661d9c,@object ; @__hip_cuid_d7d965ed02661d9c
	.section	.bss,"aw",@nobits
	.globl	__hip_cuid_d7d965ed02661d9c
__hip_cuid_d7d965ed02661d9c:
	.byte	0                               ; 0x0
	.size	__hip_cuid_d7d965ed02661d9c, 1

	.ident	"AMD clang version 19.0.0git (https://github.com/RadeonOpenCompute/llvm-project roc-6.4.0 25133 c7fe45cf4b819c5991fe208aaa96edf142730f1d)"
	.section	".note.GNU-stack","",@progbits
	.addrsig
	.addrsig_sym __hip_cuid_d7d965ed02661d9c
	.amdgpu_metadata
---
amdhsa.kernels:
  - .agpr_count:     0
    .args:
      - .address_space:  global
        .offset:         0
        .size:           8
        .value_kind:     global_buffer
      - .offset:         8
        .size:           4
        .value_kind:     hidden_block_count_x
      - .offset:         12
        .size:           4
        .value_kind:     hidden_block_count_y
      - .offset:         16
        .size:           4
        .value_kind:     hidden_block_count_z
      - .offset:         20
        .size:           2
        .value_kind:     hidden_group_size_x
      - .offset:         22
        .size:           2
        .value_kind:     hidden_group_size_y
      - .offset:         24
        .size:           2
        .value_kind:     hidden_group_size_z
      - .offset:         26
        .size:           2
        .value_kind:     hidden_remainder_x
      - .offset:         28
        .size:           2
        .value_kind:     hidden_remainder_y
      - .offset:         30
        .size:           2
        .value_kind:     hidden_remainder_z
      - .offset:         48
        .size:           8
        .value_kind:     hidden_global_offset_x
      - .offset:         56
        .size:           8
        .value_kind:     hidden_global_offset_y
      - .offset:         64
        .size:           8
        .value_kind:     hidden_global_offset_z
      - .offset:         72
        .size:           2
        .value_kind:     hidden_grid_dims
    .group_segment_fixed_size: 0
    .kernarg_segment_align: 8
    .kernarg_segment_size: 264
    .language:       OpenCL C
    .language_version:
      - 2
      - 0
    .max_flat_workgroup_size: 1024
    .name:           _Z14warp_id_kernelPj
    .private_segment_fixed_size: 0
    .sgpr_count:     11
    .sgpr_spill_count: 0
    .symbol:         _Z14warp_id_kernelPj.kd
    .uniform_work_group_size: 1
    .uses_dynamic_stack: false
    .vgpr_count:     6
    .vgpr_spill_count: 0
    .wavefront_size: 64
  - .agpr_count:     0
    .args:
      - .address_space:  global
        .offset:         0
        .size:           8
        .value_kind:     global_buffer
      - .offset:         8
        .size:           4
        .value_kind:     by_value
      - .offset:         16
        .size:           4
        .value_kind:     hidden_block_count_x
      - .offset:         20
        .size:           4
        .value_kind:     hidden_block_count_y
      - .offset:         24
        .size:           4
        .value_kind:     hidden_block_count_z
      - .offset:         28
        .size:           2
        .value_kind:     hidden_group_size_x
      - .offset:         30
        .size:           2
        .value_kind:     hidden_group_size_y
      - .offset:         32
        .size:           2
        .value_kind:     hidden_group_size_z
      - .offset:         34
        .size:           2
        .value_kind:     hidden_remainder_x
      - .offset:         36
        .size:           2
        .value_kind:     hidden_remainder_y
      - .offset:         38
        .size:           2
        .value_kind:     hidden_remainder_z
      - .offset:         56
        .size:           8
        .value_kind:     hidden_global_offset_x
      - .offset:         64
        .size:           8
        .value_kind:     hidden_global_offset_y
      - .offset:         72
        .size:           8
        .value_kind:     hidden_global_offset_z
      - .offset:         80
        .size:           2
        .value_kind:     hidden_grid_dims
    .group_segment_fixed_size: 0
    .kernarg_segment_align: 8
    .kernarg_segment_size: 272
    .language:       OpenCL C
    .language_version:
      - 2
      - 0
    .max_flat_workgroup_size: 1024
    .name:           _Z17shuffle_up_kernelILj64E12hip_bfloat16EvPT0_j
    .private_segment_fixed_size: 0
    .sgpr_count:     11
    .sgpr_spill_count: 0
    .symbol:         _Z17shuffle_up_kernelILj64E12hip_bfloat16EvPT0_j.kd
    .uniform_work_group_size: 1
    .uses_dynamic_stack: false
    .vgpr_count:     6
    .vgpr_spill_count: 0
    .wavefront_size: 64
  - .agpr_count:     0
    .args:
      - .address_space:  global
        .offset:         0
        .size:           8
        .value_kind:     global_buffer
      - .offset:         8
        .size:           4
        .value_kind:     by_value
      - .offset:         16
        .size:           4
        .value_kind:     hidden_block_count_x
      - .offset:         20
        .size:           4
        .value_kind:     hidden_block_count_y
      - .offset:         24
        .size:           4
        .value_kind:     hidden_block_count_z
      - .offset:         28
        .size:           2
        .value_kind:     hidden_group_size_x
      - .offset:         30
        .size:           2
        .value_kind:     hidden_group_size_y
      - .offset:         32
        .size:           2
        .value_kind:     hidden_group_size_z
      - .offset:         34
        .size:           2
        .value_kind:     hidden_remainder_x
      - .offset:         36
        .size:           2
        .value_kind:     hidden_remainder_y
      - .offset:         38
        .size:           2
        .value_kind:     hidden_remainder_z
      - .offset:         56
        .size:           8
        .value_kind:     hidden_global_offset_x
      - .offset:         64
        .size:           8
        .value_kind:     hidden_global_offset_y
      - .offset:         72
        .size:           8
        .value_kind:     hidden_global_offset_z
      - .offset:         80
        .size:           2
        .value_kind:     hidden_grid_dims
    .group_segment_fixed_size: 0
    .kernarg_segment_align: 8
    .kernarg_segment_size: 272
    .language:       OpenCL C
    .language_version:
      - 2
      - 0
    .max_flat_workgroup_size: 1024
    .name:           _Z17shuffle_up_kernelILj64E6__halfEvPT0_j
    .private_segment_fixed_size: 0
    .sgpr_count:     11
    .sgpr_spill_count: 0
    .symbol:         _Z17shuffle_up_kernelILj64E6__halfEvPT0_j.kd
    .uniform_work_group_size: 1
    .uses_dynamic_stack: false
    .vgpr_count:     6
    .vgpr_spill_count: 0
    .wavefront_size: 64
  - .agpr_count:     0
    .args:
      - .address_space:  global
        .offset:         0
        .size:           8
        .value_kind:     global_buffer
      - .offset:         8
        .size:           4
        .value_kind:     by_value
      - .offset:         16
        .size:           4
        .value_kind:     hidden_block_count_x
      - .offset:         20
        .size:           4
        .value_kind:     hidden_block_count_y
      - .offset:         24
        .size:           4
        .value_kind:     hidden_block_count_z
      - .offset:         28
        .size:           2
        .value_kind:     hidden_group_size_x
      - .offset:         30
        .size:           2
        .value_kind:     hidden_group_size_y
      - .offset:         32
        .size:           2
        .value_kind:     hidden_group_size_z
      - .offset:         34
        .size:           2
        .value_kind:     hidden_remainder_x
      - .offset:         36
        .size:           2
        .value_kind:     hidden_remainder_y
      - .offset:         38
        .size:           2
        .value_kind:     hidden_remainder_z
      - .offset:         56
        .size:           8
        .value_kind:     hidden_global_offset_x
      - .offset:         64
        .size:           8
        .value_kind:     hidden_global_offset_y
      - .offset:         72
        .size:           8
        .value_kind:     hidden_global_offset_z
      - .offset:         80
        .size:           2
        .value_kind:     hidden_grid_dims
    .group_segment_fixed_size: 0
    .kernarg_segment_align: 8
    .kernarg_segment_size: 272
    .language:       OpenCL C
    .language_version:
      - 2
      - 0
    .max_flat_workgroup_size: 1024
    .name:           _Z17shuffle_up_kernelILj64EhEvPT0_j
    .private_segment_fixed_size: 0
    .sgpr_count:     11
    .sgpr_spill_count: 0
    .symbol:         _Z17shuffle_up_kernelILj64EhEvPT0_j.kd
    .uniform_work_group_size: 1
    .uses_dynamic_stack: false
    .vgpr_count:     5
    .vgpr_spill_count: 0
    .wavefront_size: 64
  - .agpr_count:     0
    .args:
      - .address_space:  global
        .offset:         0
        .size:           8
        .value_kind:     global_buffer
      - .offset:         8
        .size:           4
        .value_kind:     by_value
      - .offset:         16
        .size:           4
        .value_kind:     hidden_block_count_x
      - .offset:         20
        .size:           4
        .value_kind:     hidden_block_count_y
      - .offset:         24
        .size:           4
        .value_kind:     hidden_block_count_z
      - .offset:         28
        .size:           2
        .value_kind:     hidden_group_size_x
      - .offset:         30
        .size:           2
        .value_kind:     hidden_group_size_y
      - .offset:         32
        .size:           2
        .value_kind:     hidden_group_size_z
      - .offset:         34
        .size:           2
        .value_kind:     hidden_remainder_x
      - .offset:         36
        .size:           2
        .value_kind:     hidden_remainder_y
      - .offset:         38
        .size:           2
        .value_kind:     hidden_remainder_z
      - .offset:         56
        .size:           8
        .value_kind:     hidden_global_offset_x
      - .offset:         64
        .size:           8
        .value_kind:     hidden_global_offset_y
      - .offset:         72
        .size:           8
        .value_kind:     hidden_global_offset_z
      - .offset:         80
        .size:           2
        .value_kind:     hidden_grid_dims
    .group_segment_fixed_size: 0
    .kernarg_segment_align: 8
    .kernarg_segment_size: 272
    .language:       OpenCL C
    .language_version:
      - 2
      - 0
    .max_flat_workgroup_size: 1024
    .name:           _Z17shuffle_up_kernelILj64EdEvPT0_j
    .private_segment_fixed_size: 0
    .sgpr_count:     11
    .sgpr_spill_count: 0
    .symbol:         _Z17shuffle_up_kernelILj64EdEvPT0_j.kd
    .uniform_work_group_size: 1
    .uses_dynamic_stack: false
    .vgpr_count:     7
    .vgpr_spill_count: 0
    .wavefront_size: 64
  - .agpr_count:     0
    .args:
      - .address_space:  global
        .offset:         0
        .size:           8
        .value_kind:     global_buffer
      - .offset:         8
        .size:           4
        .value_kind:     by_value
      - .offset:         16
        .size:           4
        .value_kind:     hidden_block_count_x
      - .offset:         20
        .size:           4
        .value_kind:     hidden_block_count_y
      - .offset:         24
        .size:           4
        .value_kind:     hidden_block_count_z
      - .offset:         28
        .size:           2
        .value_kind:     hidden_group_size_x
      - .offset:         30
        .size:           2
        .value_kind:     hidden_group_size_y
      - .offset:         32
        .size:           2
        .value_kind:     hidden_group_size_z
      - .offset:         34
        .size:           2
        .value_kind:     hidden_remainder_x
      - .offset:         36
        .size:           2
        .value_kind:     hidden_remainder_y
      - .offset:         38
        .size:           2
        .value_kind:     hidden_remainder_z
      - .offset:         56
        .size:           8
        .value_kind:     hidden_global_offset_x
      - .offset:         64
        .size:           8
        .value_kind:     hidden_global_offset_y
      - .offset:         72
        .size:           8
        .value_kind:     hidden_global_offset_z
      - .offset:         80
        .size:           2
        .value_kind:     hidden_grid_dims
    .group_segment_fixed_size: 0
    .kernarg_segment_align: 8
    .kernarg_segment_size: 272
    .language:       OpenCL C
    .language_version:
      - 2
      - 0
    .max_flat_workgroup_size: 1024
    .name:           _Z17shuffle_up_kernelILj64EfEvPT0_j
    .private_segment_fixed_size: 0
    .sgpr_count:     11
    .sgpr_spill_count: 0
    .symbol:         _Z17shuffle_up_kernelILj64EfEvPT0_j.kd
    .uniform_work_group_size: 1
    .uses_dynamic_stack: false
    .vgpr_count:     6
    .vgpr_spill_count: 0
    .wavefront_size: 64
  - .agpr_count:     0
    .args:
      - .address_space:  global
        .offset:         0
        .size:           8
        .value_kind:     global_buffer
      - .offset:         8
        .size:           4
        .value_kind:     by_value
      - .offset:         16
        .size:           4
        .value_kind:     hidden_block_count_x
      - .offset:         20
        .size:           4
        .value_kind:     hidden_block_count_y
      - .offset:         24
        .size:           4
        .value_kind:     hidden_block_count_z
      - .offset:         28
        .size:           2
        .value_kind:     hidden_group_size_x
      - .offset:         30
        .size:           2
        .value_kind:     hidden_group_size_y
      - .offset:         32
        .size:           2
        .value_kind:     hidden_group_size_z
      - .offset:         34
        .size:           2
        .value_kind:     hidden_remainder_x
      - .offset:         36
        .size:           2
        .value_kind:     hidden_remainder_y
      - .offset:         38
        .size:           2
        .value_kind:     hidden_remainder_z
      - .offset:         56
        .size:           8
        .value_kind:     hidden_global_offset_x
      - .offset:         64
        .size:           8
        .value_kind:     hidden_global_offset_y
      - .offset:         72
        .size:           8
        .value_kind:     hidden_global_offset_z
      - .offset:         80
        .size:           2
        .value_kind:     hidden_grid_dims
    .group_segment_fixed_size: 0
    .kernarg_segment_align: 8
    .kernarg_segment_size: 272
    .language:       OpenCL C
    .language_version:
      - 2
      - 0
    .max_flat_workgroup_size: 1024
    .name:           _Z17shuffle_up_kernelILj32EhEvPT0_j
    .private_segment_fixed_size: 0
    .sgpr_count:     11
    .sgpr_spill_count: 0
    .symbol:         _Z17shuffle_up_kernelILj32EhEvPT0_j.kd
    .uniform_work_group_size: 1
    .uses_dynamic_stack: false
    .vgpr_count:     5
    .vgpr_spill_count: 0
    .wavefront_size: 64
  - .agpr_count:     0
    .args:
      - .address_space:  global
        .offset:         0
        .size:           8
        .value_kind:     global_buffer
      - .offset:         8
        .size:           4
        .value_kind:     by_value
      - .offset:         16
        .size:           4
        .value_kind:     hidden_block_count_x
      - .offset:         20
        .size:           4
        .value_kind:     hidden_block_count_y
      - .offset:         24
        .size:           4
        .value_kind:     hidden_block_count_z
      - .offset:         28
        .size:           2
        .value_kind:     hidden_group_size_x
      - .offset:         30
        .size:           2
        .value_kind:     hidden_group_size_y
      - .offset:         32
        .size:           2
        .value_kind:     hidden_group_size_z
      - .offset:         34
        .size:           2
        .value_kind:     hidden_remainder_x
      - .offset:         36
        .size:           2
        .value_kind:     hidden_remainder_y
      - .offset:         38
        .size:           2
        .value_kind:     hidden_remainder_z
      - .offset:         56
        .size:           8
        .value_kind:     hidden_global_offset_x
      - .offset:         64
        .size:           8
        .value_kind:     hidden_global_offset_y
      - .offset:         72
        .size:           8
        .value_kind:     hidden_global_offset_z
      - .offset:         80
        .size:           2
        .value_kind:     hidden_grid_dims
    .group_segment_fixed_size: 0
    .kernarg_segment_align: 8
    .kernarg_segment_size: 272
    .language:       OpenCL C
    .language_version:
      - 2
      - 0
    .max_flat_workgroup_size: 1024
    .name:           _Z17shuffle_up_kernelILj32E12hip_bfloat16EvPT0_j
    .private_segment_fixed_size: 0
    .sgpr_count:     11
    .sgpr_spill_count: 0
    .symbol:         _Z17shuffle_up_kernelILj32E12hip_bfloat16EvPT0_j.kd
    .uniform_work_group_size: 1
    .uses_dynamic_stack: false
    .vgpr_count:     6
    .vgpr_spill_count: 0
    .wavefront_size: 64
  - .agpr_count:     0
    .args:
      - .address_space:  global
        .offset:         0
        .size:           8
        .value_kind:     global_buffer
      - .offset:         8
        .size:           4
        .value_kind:     by_value
      - .offset:         16
        .size:           4
        .value_kind:     hidden_block_count_x
      - .offset:         20
        .size:           4
        .value_kind:     hidden_block_count_y
      - .offset:         24
        .size:           4
        .value_kind:     hidden_block_count_z
      - .offset:         28
        .size:           2
        .value_kind:     hidden_group_size_x
      - .offset:         30
        .size:           2
        .value_kind:     hidden_group_size_y
      - .offset:         32
        .size:           2
        .value_kind:     hidden_group_size_z
      - .offset:         34
        .size:           2
        .value_kind:     hidden_remainder_x
      - .offset:         36
        .size:           2
        .value_kind:     hidden_remainder_y
      - .offset:         38
        .size:           2
        .value_kind:     hidden_remainder_z
      - .offset:         56
        .size:           8
        .value_kind:     hidden_global_offset_x
      - .offset:         64
        .size:           8
        .value_kind:     hidden_global_offset_y
      - .offset:         72
        .size:           8
        .value_kind:     hidden_global_offset_z
      - .offset:         80
        .size:           2
        .value_kind:     hidden_grid_dims
    .group_segment_fixed_size: 0
    .kernarg_segment_align: 8
    .kernarg_segment_size: 272
    .language:       OpenCL C
    .language_version:
      - 2
      - 0
    .max_flat_workgroup_size: 1024
    .name:           _Z17shuffle_up_kernelILj32E6__halfEvPT0_j
    .private_segment_fixed_size: 0
    .sgpr_count:     11
    .sgpr_spill_count: 0
    .symbol:         _Z17shuffle_up_kernelILj32E6__halfEvPT0_j.kd
    .uniform_work_group_size: 1
    .uses_dynamic_stack: false
    .vgpr_count:     6
    .vgpr_spill_count: 0
    .wavefront_size: 64
  - .agpr_count:     0
    .args:
      - .address_space:  global
        .offset:         0
        .size:           8
        .value_kind:     global_buffer
      - .offset:         8
        .size:           4
        .value_kind:     by_value
      - .offset:         16
        .size:           4
        .value_kind:     hidden_block_count_x
      - .offset:         20
        .size:           4
        .value_kind:     hidden_block_count_y
      - .offset:         24
        .size:           4
        .value_kind:     hidden_block_count_z
      - .offset:         28
        .size:           2
        .value_kind:     hidden_group_size_x
      - .offset:         30
        .size:           2
        .value_kind:     hidden_group_size_y
      - .offset:         32
        .size:           2
        .value_kind:     hidden_group_size_z
      - .offset:         34
        .size:           2
        .value_kind:     hidden_remainder_x
      - .offset:         36
        .size:           2
        .value_kind:     hidden_remainder_y
      - .offset:         38
        .size:           2
        .value_kind:     hidden_remainder_z
      - .offset:         56
        .size:           8
        .value_kind:     hidden_global_offset_x
      - .offset:         64
        .size:           8
        .value_kind:     hidden_global_offset_y
      - .offset:         72
        .size:           8
        .value_kind:     hidden_global_offset_z
      - .offset:         80
        .size:           2
        .value_kind:     hidden_grid_dims
    .group_segment_fixed_size: 0
    .kernarg_segment_align: 8
    .kernarg_segment_size: 272
    .language:       OpenCL C
    .language_version:
      - 2
      - 0
    .max_flat_workgroup_size: 1024
    .name:           _Z17shuffle_up_kernelILj32EdEvPT0_j
    .private_segment_fixed_size: 0
    .sgpr_count:     11
    .sgpr_spill_count: 0
    .symbol:         _Z17shuffle_up_kernelILj32EdEvPT0_j.kd
    .uniform_work_group_size: 1
    .uses_dynamic_stack: false
    .vgpr_count:     7
    .vgpr_spill_count: 0
    .wavefront_size: 64
  - .agpr_count:     0
    .args:
      - .address_space:  global
        .offset:         0
        .size:           8
        .value_kind:     global_buffer
      - .offset:         8
        .size:           4
        .value_kind:     by_value
      - .offset:         16
        .size:           4
        .value_kind:     hidden_block_count_x
      - .offset:         20
        .size:           4
        .value_kind:     hidden_block_count_y
      - .offset:         24
        .size:           4
        .value_kind:     hidden_block_count_z
      - .offset:         28
        .size:           2
        .value_kind:     hidden_group_size_x
      - .offset:         30
        .size:           2
        .value_kind:     hidden_group_size_y
      - .offset:         32
        .size:           2
        .value_kind:     hidden_group_size_z
      - .offset:         34
        .size:           2
        .value_kind:     hidden_remainder_x
      - .offset:         36
        .size:           2
        .value_kind:     hidden_remainder_y
      - .offset:         38
        .size:           2
        .value_kind:     hidden_remainder_z
      - .offset:         56
        .size:           8
        .value_kind:     hidden_global_offset_x
      - .offset:         64
        .size:           8
        .value_kind:     hidden_global_offset_y
      - .offset:         72
        .size:           8
        .value_kind:     hidden_global_offset_z
      - .offset:         80
        .size:           2
        .value_kind:     hidden_grid_dims
    .group_segment_fixed_size: 0
    .kernarg_segment_align: 8
    .kernarg_segment_size: 272
    .language:       OpenCL C
    .language_version:
      - 2
      - 0
    .max_flat_workgroup_size: 1024
    .name:           _Z17shuffle_up_kernelILj32EfEvPT0_j
    .private_segment_fixed_size: 0
    .sgpr_count:     11
    .sgpr_spill_count: 0
    .symbol:         _Z17shuffle_up_kernelILj32EfEvPT0_j.kd
    .uniform_work_group_size: 1
    .uses_dynamic_stack: false
    .vgpr_count:     6
    .vgpr_spill_count: 0
    .wavefront_size: 64
  - .agpr_count:     0
    .args:
      - .address_space:  global
        .offset:         0
        .size:           8
        .value_kind:     global_buffer
      - .offset:         8
        .size:           4
        .value_kind:     by_value
      - .offset:         16
        .size:           4
        .value_kind:     hidden_block_count_x
      - .offset:         20
        .size:           4
        .value_kind:     hidden_block_count_y
      - .offset:         24
        .size:           4
        .value_kind:     hidden_block_count_z
      - .offset:         28
        .size:           2
        .value_kind:     hidden_group_size_x
      - .offset:         30
        .size:           2
        .value_kind:     hidden_group_size_y
      - .offset:         32
        .size:           2
        .value_kind:     hidden_group_size_z
      - .offset:         34
        .size:           2
        .value_kind:     hidden_remainder_x
      - .offset:         36
        .size:           2
        .value_kind:     hidden_remainder_y
      - .offset:         38
        .size:           2
        .value_kind:     hidden_remainder_z
      - .offset:         56
        .size:           8
        .value_kind:     hidden_global_offset_x
      - .offset:         64
        .size:           8
        .value_kind:     hidden_global_offset_y
      - .offset:         72
        .size:           8
        .value_kind:     hidden_global_offset_z
      - .offset:         80
        .size:           2
        .value_kind:     hidden_grid_dims
    .group_segment_fixed_size: 0
    .kernarg_segment_align: 8
    .kernarg_segment_size: 272
    .language:       OpenCL C
    .language_version:
      - 2
      - 0
    .max_flat_workgroup_size: 1024
    .name:           _Z17shuffle_up_kernelILj2EiEvPT0_j
    .private_segment_fixed_size: 0
    .sgpr_count:     11
    .sgpr_spill_count: 0
    .symbol:         _Z17shuffle_up_kernelILj2EiEvPT0_j.kd
    .uniform_work_group_size: 1
    .uses_dynamic_stack: false
    .vgpr_count:     6
    .vgpr_spill_count: 0
    .wavefront_size: 64
  - .agpr_count:     0
    .args:
      - .address_space:  global
        .offset:         0
        .size:           8
        .value_kind:     global_buffer
      - .offset:         8
        .size:           4
        .value_kind:     by_value
      - .offset:         16
        .size:           4
        .value_kind:     hidden_block_count_x
      - .offset:         20
        .size:           4
        .value_kind:     hidden_block_count_y
      - .offset:         24
        .size:           4
        .value_kind:     hidden_block_count_z
      - .offset:         28
        .size:           2
        .value_kind:     hidden_group_size_x
      - .offset:         30
        .size:           2
        .value_kind:     hidden_group_size_y
      - .offset:         32
        .size:           2
        .value_kind:     hidden_group_size_z
      - .offset:         34
        .size:           2
        .value_kind:     hidden_remainder_x
      - .offset:         36
        .size:           2
        .value_kind:     hidden_remainder_y
      - .offset:         38
        .size:           2
        .value_kind:     hidden_remainder_z
      - .offset:         56
        .size:           8
        .value_kind:     hidden_global_offset_x
      - .offset:         64
        .size:           8
        .value_kind:     hidden_global_offset_y
      - .offset:         72
        .size:           8
        .value_kind:     hidden_global_offset_z
      - .offset:         80
        .size:           2
        .value_kind:     hidden_grid_dims
    .group_segment_fixed_size: 0
    .kernarg_segment_align: 8
    .kernarg_segment_size: 272
    .language:       OpenCL C
    .language_version:
      - 2
      - 0
    .max_flat_workgroup_size: 1024
    .name:           _Z17shuffle_up_kernelILj4EiEvPT0_j
    .private_segment_fixed_size: 0
    .sgpr_count:     11
    .sgpr_spill_count: 0
    .symbol:         _Z17shuffle_up_kernelILj4EiEvPT0_j.kd
    .uniform_work_group_size: 1
    .uses_dynamic_stack: false
    .vgpr_count:     6
    .vgpr_spill_count: 0
    .wavefront_size: 64
  - .agpr_count:     0
    .args:
      - .address_space:  global
        .offset:         0
        .size:           8
        .value_kind:     global_buffer
      - .offset:         8
        .size:           4
        .value_kind:     by_value
      - .offset:         16
        .size:           4
        .value_kind:     hidden_block_count_x
      - .offset:         20
        .size:           4
        .value_kind:     hidden_block_count_y
      - .offset:         24
        .size:           4
        .value_kind:     hidden_block_count_z
      - .offset:         28
        .size:           2
        .value_kind:     hidden_group_size_x
      - .offset:         30
        .size:           2
        .value_kind:     hidden_group_size_y
      - .offset:         32
        .size:           2
        .value_kind:     hidden_group_size_z
      - .offset:         34
        .size:           2
        .value_kind:     hidden_remainder_x
      - .offset:         36
        .size:           2
        .value_kind:     hidden_remainder_y
      - .offset:         38
        .size:           2
        .value_kind:     hidden_remainder_z
      - .offset:         56
        .size:           8
        .value_kind:     hidden_global_offset_x
      - .offset:         64
        .size:           8
        .value_kind:     hidden_global_offset_y
      - .offset:         72
        .size:           8
        .value_kind:     hidden_global_offset_z
      - .offset:         80
        .size:           2
        .value_kind:     hidden_grid_dims
    .group_segment_fixed_size: 0
    .kernarg_segment_align: 8
    .kernarg_segment_size: 272
    .language:       OpenCL C
    .language_version:
      - 2
      - 0
    .max_flat_workgroup_size: 1024
    .name:           _Z17shuffle_up_kernelILj8EiEvPT0_j
    .private_segment_fixed_size: 0
    .sgpr_count:     11
    .sgpr_spill_count: 0
    .symbol:         _Z17shuffle_up_kernelILj8EiEvPT0_j.kd
    .uniform_work_group_size: 1
    .uses_dynamic_stack: false
    .vgpr_count:     6
    .vgpr_spill_count: 0
    .wavefront_size: 64
  - .agpr_count:     0
    .args:
      - .address_space:  global
        .offset:         0
        .size:           8
        .value_kind:     global_buffer
      - .offset:         8
        .size:           4
        .value_kind:     by_value
      - .offset:         16
        .size:           4
        .value_kind:     hidden_block_count_x
      - .offset:         20
        .size:           4
        .value_kind:     hidden_block_count_y
      - .offset:         24
        .size:           4
        .value_kind:     hidden_block_count_z
      - .offset:         28
        .size:           2
        .value_kind:     hidden_group_size_x
      - .offset:         30
        .size:           2
        .value_kind:     hidden_group_size_y
      - .offset:         32
        .size:           2
        .value_kind:     hidden_group_size_z
      - .offset:         34
        .size:           2
        .value_kind:     hidden_remainder_x
      - .offset:         36
        .size:           2
        .value_kind:     hidden_remainder_y
      - .offset:         38
        .size:           2
        .value_kind:     hidden_remainder_z
      - .offset:         56
        .size:           8
        .value_kind:     hidden_global_offset_x
      - .offset:         64
        .size:           8
        .value_kind:     hidden_global_offset_y
      - .offset:         72
        .size:           8
        .value_kind:     hidden_global_offset_z
      - .offset:         80
        .size:           2
        .value_kind:     hidden_grid_dims
    .group_segment_fixed_size: 0
    .kernarg_segment_align: 8
    .kernarg_segment_size: 272
    .language:       OpenCL C
    .language_version:
      - 2
      - 0
    .max_flat_workgroup_size: 1024
    .name:           _Z17shuffle_up_kernelILj16EiEvPT0_j
    .private_segment_fixed_size: 0
    .sgpr_count:     11
    .sgpr_spill_count: 0
    .symbol:         _Z17shuffle_up_kernelILj16EiEvPT0_j.kd
    .uniform_work_group_size: 1
    .uses_dynamic_stack: false
    .vgpr_count:     6
    .vgpr_spill_count: 0
    .wavefront_size: 64
  - .agpr_count:     0
    .args:
      - .address_space:  global
        .offset:         0
        .size:           8
        .value_kind:     global_buffer
      - .offset:         8
        .size:           4
        .value_kind:     by_value
      - .offset:         16
        .size:           4
        .value_kind:     hidden_block_count_x
      - .offset:         20
        .size:           4
        .value_kind:     hidden_block_count_y
      - .offset:         24
        .size:           4
        .value_kind:     hidden_block_count_z
      - .offset:         28
        .size:           2
        .value_kind:     hidden_group_size_x
      - .offset:         30
        .size:           2
        .value_kind:     hidden_group_size_y
      - .offset:         32
        .size:           2
        .value_kind:     hidden_group_size_z
      - .offset:         34
        .size:           2
        .value_kind:     hidden_remainder_x
      - .offset:         36
        .size:           2
        .value_kind:     hidden_remainder_y
      - .offset:         38
        .size:           2
        .value_kind:     hidden_remainder_z
      - .offset:         56
        .size:           8
        .value_kind:     hidden_global_offset_x
      - .offset:         64
        .size:           8
        .value_kind:     hidden_global_offset_y
      - .offset:         72
        .size:           8
        .value_kind:     hidden_global_offset_z
      - .offset:         80
        .size:           2
        .value_kind:     hidden_grid_dims
    .group_segment_fixed_size: 0
    .kernarg_segment_align: 8
    .kernarg_segment_size: 272
    .language:       OpenCL C
    .language_version:
      - 2
      - 0
    .max_flat_workgroup_size: 1024
    .name:           _Z17shuffle_up_kernelILj32EiEvPT0_j
    .private_segment_fixed_size: 0
    .sgpr_count:     11
    .sgpr_spill_count: 0
    .symbol:         _Z17shuffle_up_kernelILj32EiEvPT0_j.kd
    .uniform_work_group_size: 1
    .uses_dynamic_stack: false
    .vgpr_count:     6
    .vgpr_spill_count: 0
    .wavefront_size: 64
  - .agpr_count:     0
    .args:
      - .address_space:  global
        .offset:         0
        .size:           8
        .value_kind:     global_buffer
      - .offset:         8
        .size:           4
        .value_kind:     by_value
      - .offset:         16
        .size:           4
        .value_kind:     hidden_block_count_x
      - .offset:         20
        .size:           4
        .value_kind:     hidden_block_count_y
      - .offset:         24
        .size:           4
        .value_kind:     hidden_block_count_z
      - .offset:         28
        .size:           2
        .value_kind:     hidden_group_size_x
      - .offset:         30
        .size:           2
        .value_kind:     hidden_group_size_y
      - .offset:         32
        .size:           2
        .value_kind:     hidden_group_size_z
      - .offset:         34
        .size:           2
        .value_kind:     hidden_remainder_x
      - .offset:         36
        .size:           2
        .value_kind:     hidden_remainder_y
      - .offset:         38
        .size:           2
        .value_kind:     hidden_remainder_z
      - .offset:         56
        .size:           8
        .value_kind:     hidden_global_offset_x
      - .offset:         64
        .size:           8
        .value_kind:     hidden_global_offset_y
      - .offset:         72
        .size:           8
        .value_kind:     hidden_global_offset_z
      - .offset:         80
        .size:           2
        .value_kind:     hidden_grid_dims
    .group_segment_fixed_size: 0
    .kernarg_segment_align: 8
    .kernarg_segment_size: 272
    .language:       OpenCL C
    .language_version:
      - 2
      - 0
    .max_flat_workgroup_size: 1024
    .name:           _Z19shuffle_down_kernelILj64E12hip_bfloat16EvPT0_j
    .private_segment_fixed_size: 0
    .sgpr_count:     11
    .sgpr_spill_count: 0
    .symbol:         _Z19shuffle_down_kernelILj64E12hip_bfloat16EvPT0_j.kd
    .uniform_work_group_size: 1
    .uses_dynamic_stack: false
    .vgpr_count:     6
    .vgpr_spill_count: 0
    .wavefront_size: 64
  - .agpr_count:     0
    .args:
      - .address_space:  global
        .offset:         0
        .size:           8
        .value_kind:     global_buffer
      - .offset:         8
        .size:           4
        .value_kind:     by_value
      - .offset:         16
        .size:           4
        .value_kind:     hidden_block_count_x
      - .offset:         20
        .size:           4
        .value_kind:     hidden_block_count_y
      - .offset:         24
        .size:           4
        .value_kind:     hidden_block_count_z
      - .offset:         28
        .size:           2
        .value_kind:     hidden_group_size_x
      - .offset:         30
        .size:           2
        .value_kind:     hidden_group_size_y
      - .offset:         32
        .size:           2
        .value_kind:     hidden_group_size_z
      - .offset:         34
        .size:           2
        .value_kind:     hidden_remainder_x
      - .offset:         36
        .size:           2
        .value_kind:     hidden_remainder_y
      - .offset:         38
        .size:           2
        .value_kind:     hidden_remainder_z
      - .offset:         56
        .size:           8
        .value_kind:     hidden_global_offset_x
      - .offset:         64
        .size:           8
        .value_kind:     hidden_global_offset_y
      - .offset:         72
        .size:           8
        .value_kind:     hidden_global_offset_z
      - .offset:         80
        .size:           2
        .value_kind:     hidden_grid_dims
    .group_segment_fixed_size: 0
    .kernarg_segment_align: 8
    .kernarg_segment_size: 272
    .language:       OpenCL C
    .language_version:
      - 2
      - 0
    .max_flat_workgroup_size: 1024
    .name:           _Z19shuffle_down_kernelILj64E6__halfEvPT0_j
    .private_segment_fixed_size: 0
    .sgpr_count:     11
    .sgpr_spill_count: 0
    .symbol:         _Z19shuffle_down_kernelILj64E6__halfEvPT0_j.kd
    .uniform_work_group_size: 1
    .uses_dynamic_stack: false
    .vgpr_count:     6
    .vgpr_spill_count: 0
    .wavefront_size: 64
  - .agpr_count:     0
    .args:
      - .address_space:  global
        .offset:         0
        .size:           8
        .value_kind:     global_buffer
      - .offset:         8
        .size:           4
        .value_kind:     by_value
      - .offset:         16
        .size:           4
        .value_kind:     hidden_block_count_x
      - .offset:         20
        .size:           4
        .value_kind:     hidden_block_count_y
      - .offset:         24
        .size:           4
        .value_kind:     hidden_block_count_z
      - .offset:         28
        .size:           2
        .value_kind:     hidden_group_size_x
      - .offset:         30
        .size:           2
        .value_kind:     hidden_group_size_y
      - .offset:         32
        .size:           2
        .value_kind:     hidden_group_size_z
      - .offset:         34
        .size:           2
        .value_kind:     hidden_remainder_x
      - .offset:         36
        .size:           2
        .value_kind:     hidden_remainder_y
      - .offset:         38
        .size:           2
        .value_kind:     hidden_remainder_z
      - .offset:         56
        .size:           8
        .value_kind:     hidden_global_offset_x
      - .offset:         64
        .size:           8
        .value_kind:     hidden_global_offset_y
      - .offset:         72
        .size:           8
        .value_kind:     hidden_global_offset_z
      - .offset:         80
        .size:           2
        .value_kind:     hidden_grid_dims
    .group_segment_fixed_size: 0
    .kernarg_segment_align: 8
    .kernarg_segment_size: 272
    .language:       OpenCL C
    .language_version:
      - 2
      - 0
    .max_flat_workgroup_size: 1024
    .name:           _Z19shuffle_down_kernelILj64EhEvPT0_j
    .private_segment_fixed_size: 0
    .sgpr_count:     11
    .sgpr_spill_count: 0
    .symbol:         _Z19shuffle_down_kernelILj64EhEvPT0_j.kd
    .uniform_work_group_size: 1
    .uses_dynamic_stack: false
    .vgpr_count:     5
    .vgpr_spill_count: 0
    .wavefront_size: 64
  - .agpr_count:     0
    .args:
      - .address_space:  global
        .offset:         0
        .size:           8
        .value_kind:     global_buffer
      - .offset:         8
        .size:           4
        .value_kind:     by_value
      - .offset:         16
        .size:           4
        .value_kind:     hidden_block_count_x
      - .offset:         20
        .size:           4
        .value_kind:     hidden_block_count_y
      - .offset:         24
        .size:           4
        .value_kind:     hidden_block_count_z
      - .offset:         28
        .size:           2
        .value_kind:     hidden_group_size_x
      - .offset:         30
        .size:           2
        .value_kind:     hidden_group_size_y
      - .offset:         32
        .size:           2
        .value_kind:     hidden_group_size_z
      - .offset:         34
        .size:           2
        .value_kind:     hidden_remainder_x
      - .offset:         36
        .size:           2
        .value_kind:     hidden_remainder_y
      - .offset:         38
        .size:           2
        .value_kind:     hidden_remainder_z
      - .offset:         56
        .size:           8
        .value_kind:     hidden_global_offset_x
      - .offset:         64
        .size:           8
        .value_kind:     hidden_global_offset_y
      - .offset:         72
        .size:           8
        .value_kind:     hidden_global_offset_z
      - .offset:         80
        .size:           2
        .value_kind:     hidden_grid_dims
    .group_segment_fixed_size: 0
    .kernarg_segment_align: 8
    .kernarg_segment_size: 272
    .language:       OpenCL C
    .language_version:
      - 2
      - 0
    .max_flat_workgroup_size: 1024
    .name:           _Z19shuffle_down_kernelILj64EdEvPT0_j
    .private_segment_fixed_size: 0
    .sgpr_count:     11
    .sgpr_spill_count: 0
    .symbol:         _Z19shuffle_down_kernelILj64EdEvPT0_j.kd
    .uniform_work_group_size: 1
    .uses_dynamic_stack: false
    .vgpr_count:     7
    .vgpr_spill_count: 0
    .wavefront_size: 64
  - .agpr_count:     0
    .args:
      - .address_space:  global
        .offset:         0
        .size:           8
        .value_kind:     global_buffer
      - .offset:         8
        .size:           4
        .value_kind:     by_value
      - .offset:         16
        .size:           4
        .value_kind:     hidden_block_count_x
      - .offset:         20
        .size:           4
        .value_kind:     hidden_block_count_y
      - .offset:         24
        .size:           4
        .value_kind:     hidden_block_count_z
      - .offset:         28
        .size:           2
        .value_kind:     hidden_group_size_x
      - .offset:         30
        .size:           2
        .value_kind:     hidden_group_size_y
      - .offset:         32
        .size:           2
        .value_kind:     hidden_group_size_z
      - .offset:         34
        .size:           2
        .value_kind:     hidden_remainder_x
      - .offset:         36
        .size:           2
        .value_kind:     hidden_remainder_y
      - .offset:         38
        .size:           2
        .value_kind:     hidden_remainder_z
      - .offset:         56
        .size:           8
        .value_kind:     hidden_global_offset_x
      - .offset:         64
        .size:           8
        .value_kind:     hidden_global_offset_y
      - .offset:         72
        .size:           8
        .value_kind:     hidden_global_offset_z
      - .offset:         80
        .size:           2
        .value_kind:     hidden_grid_dims
    .group_segment_fixed_size: 0
    .kernarg_segment_align: 8
    .kernarg_segment_size: 272
    .language:       OpenCL C
    .language_version:
      - 2
      - 0
    .max_flat_workgroup_size: 1024
    .name:           _Z19shuffle_down_kernelILj64EfEvPT0_j
    .private_segment_fixed_size: 0
    .sgpr_count:     11
    .sgpr_spill_count: 0
    .symbol:         _Z19shuffle_down_kernelILj64EfEvPT0_j.kd
    .uniform_work_group_size: 1
    .uses_dynamic_stack: false
    .vgpr_count:     6
    .vgpr_spill_count: 0
    .wavefront_size: 64
  - .agpr_count:     0
    .args:
      - .address_space:  global
        .offset:         0
        .size:           8
        .value_kind:     global_buffer
      - .offset:         8
        .size:           4
        .value_kind:     by_value
      - .offset:         16
        .size:           4
        .value_kind:     hidden_block_count_x
      - .offset:         20
        .size:           4
        .value_kind:     hidden_block_count_y
      - .offset:         24
        .size:           4
        .value_kind:     hidden_block_count_z
      - .offset:         28
        .size:           2
        .value_kind:     hidden_group_size_x
      - .offset:         30
        .size:           2
        .value_kind:     hidden_group_size_y
      - .offset:         32
        .size:           2
        .value_kind:     hidden_group_size_z
      - .offset:         34
        .size:           2
        .value_kind:     hidden_remainder_x
      - .offset:         36
        .size:           2
        .value_kind:     hidden_remainder_y
      - .offset:         38
        .size:           2
        .value_kind:     hidden_remainder_z
      - .offset:         56
        .size:           8
        .value_kind:     hidden_global_offset_x
      - .offset:         64
        .size:           8
        .value_kind:     hidden_global_offset_y
      - .offset:         72
        .size:           8
        .value_kind:     hidden_global_offset_z
      - .offset:         80
        .size:           2
        .value_kind:     hidden_grid_dims
    .group_segment_fixed_size: 0
    .kernarg_segment_align: 8
    .kernarg_segment_size: 272
    .language:       OpenCL C
    .language_version:
      - 2
      - 0
    .max_flat_workgroup_size: 1024
    .name:           _Z19shuffle_down_kernelILj32EhEvPT0_j
    .private_segment_fixed_size: 0
    .sgpr_count:     11
    .sgpr_spill_count: 0
    .symbol:         _Z19shuffle_down_kernelILj32EhEvPT0_j.kd
    .uniform_work_group_size: 1
    .uses_dynamic_stack: false
    .vgpr_count:     5
    .vgpr_spill_count: 0
    .wavefront_size: 64
  - .agpr_count:     0
    .args:
      - .address_space:  global
        .offset:         0
        .size:           8
        .value_kind:     global_buffer
      - .offset:         8
        .size:           4
        .value_kind:     by_value
      - .offset:         16
        .size:           4
        .value_kind:     hidden_block_count_x
      - .offset:         20
        .size:           4
        .value_kind:     hidden_block_count_y
      - .offset:         24
        .size:           4
        .value_kind:     hidden_block_count_z
      - .offset:         28
        .size:           2
        .value_kind:     hidden_group_size_x
      - .offset:         30
        .size:           2
        .value_kind:     hidden_group_size_y
      - .offset:         32
        .size:           2
        .value_kind:     hidden_group_size_z
      - .offset:         34
        .size:           2
        .value_kind:     hidden_remainder_x
      - .offset:         36
        .size:           2
        .value_kind:     hidden_remainder_y
      - .offset:         38
        .size:           2
        .value_kind:     hidden_remainder_z
      - .offset:         56
        .size:           8
        .value_kind:     hidden_global_offset_x
      - .offset:         64
        .size:           8
        .value_kind:     hidden_global_offset_y
      - .offset:         72
        .size:           8
        .value_kind:     hidden_global_offset_z
      - .offset:         80
        .size:           2
        .value_kind:     hidden_grid_dims
    .group_segment_fixed_size: 0
    .kernarg_segment_align: 8
    .kernarg_segment_size: 272
    .language:       OpenCL C
    .language_version:
      - 2
      - 0
    .max_flat_workgroup_size: 1024
    .name:           _Z19shuffle_down_kernelILj32E12hip_bfloat16EvPT0_j
    .private_segment_fixed_size: 0
    .sgpr_count:     11
    .sgpr_spill_count: 0
    .symbol:         _Z19shuffle_down_kernelILj32E12hip_bfloat16EvPT0_j.kd
    .uniform_work_group_size: 1
    .uses_dynamic_stack: false
    .vgpr_count:     6
    .vgpr_spill_count: 0
    .wavefront_size: 64
  - .agpr_count:     0
    .args:
      - .address_space:  global
        .offset:         0
        .size:           8
        .value_kind:     global_buffer
      - .offset:         8
        .size:           4
        .value_kind:     by_value
      - .offset:         16
        .size:           4
        .value_kind:     hidden_block_count_x
      - .offset:         20
        .size:           4
        .value_kind:     hidden_block_count_y
      - .offset:         24
        .size:           4
        .value_kind:     hidden_block_count_z
      - .offset:         28
        .size:           2
        .value_kind:     hidden_group_size_x
      - .offset:         30
        .size:           2
        .value_kind:     hidden_group_size_y
      - .offset:         32
        .size:           2
        .value_kind:     hidden_group_size_z
      - .offset:         34
        .size:           2
        .value_kind:     hidden_remainder_x
      - .offset:         36
        .size:           2
        .value_kind:     hidden_remainder_y
      - .offset:         38
        .size:           2
        .value_kind:     hidden_remainder_z
      - .offset:         56
        .size:           8
        .value_kind:     hidden_global_offset_x
      - .offset:         64
        .size:           8
        .value_kind:     hidden_global_offset_y
      - .offset:         72
        .size:           8
        .value_kind:     hidden_global_offset_z
      - .offset:         80
        .size:           2
        .value_kind:     hidden_grid_dims
    .group_segment_fixed_size: 0
    .kernarg_segment_align: 8
    .kernarg_segment_size: 272
    .language:       OpenCL C
    .language_version:
      - 2
      - 0
    .max_flat_workgroup_size: 1024
    .name:           _Z19shuffle_down_kernelILj32E6__halfEvPT0_j
    .private_segment_fixed_size: 0
    .sgpr_count:     11
    .sgpr_spill_count: 0
    .symbol:         _Z19shuffle_down_kernelILj32E6__halfEvPT0_j.kd
    .uniform_work_group_size: 1
    .uses_dynamic_stack: false
    .vgpr_count:     6
    .vgpr_spill_count: 0
    .wavefront_size: 64
  - .agpr_count:     0
    .args:
      - .address_space:  global
        .offset:         0
        .size:           8
        .value_kind:     global_buffer
      - .offset:         8
        .size:           4
        .value_kind:     by_value
      - .offset:         16
        .size:           4
        .value_kind:     hidden_block_count_x
      - .offset:         20
        .size:           4
        .value_kind:     hidden_block_count_y
      - .offset:         24
        .size:           4
        .value_kind:     hidden_block_count_z
      - .offset:         28
        .size:           2
        .value_kind:     hidden_group_size_x
      - .offset:         30
        .size:           2
        .value_kind:     hidden_group_size_y
      - .offset:         32
        .size:           2
        .value_kind:     hidden_group_size_z
      - .offset:         34
        .size:           2
        .value_kind:     hidden_remainder_x
      - .offset:         36
        .size:           2
        .value_kind:     hidden_remainder_y
      - .offset:         38
        .size:           2
        .value_kind:     hidden_remainder_z
      - .offset:         56
        .size:           8
        .value_kind:     hidden_global_offset_x
      - .offset:         64
        .size:           8
        .value_kind:     hidden_global_offset_y
      - .offset:         72
        .size:           8
        .value_kind:     hidden_global_offset_z
      - .offset:         80
        .size:           2
        .value_kind:     hidden_grid_dims
    .group_segment_fixed_size: 0
    .kernarg_segment_align: 8
    .kernarg_segment_size: 272
    .language:       OpenCL C
    .language_version:
      - 2
      - 0
    .max_flat_workgroup_size: 1024
    .name:           _Z19shuffle_down_kernelILj32EdEvPT0_j
    .private_segment_fixed_size: 0
    .sgpr_count:     11
    .sgpr_spill_count: 0
    .symbol:         _Z19shuffle_down_kernelILj32EdEvPT0_j.kd
    .uniform_work_group_size: 1
    .uses_dynamic_stack: false
    .vgpr_count:     7
    .vgpr_spill_count: 0
    .wavefront_size: 64
  - .agpr_count:     0
    .args:
      - .address_space:  global
        .offset:         0
        .size:           8
        .value_kind:     global_buffer
      - .offset:         8
        .size:           4
        .value_kind:     by_value
      - .offset:         16
        .size:           4
        .value_kind:     hidden_block_count_x
      - .offset:         20
        .size:           4
        .value_kind:     hidden_block_count_y
      - .offset:         24
        .size:           4
        .value_kind:     hidden_block_count_z
      - .offset:         28
        .size:           2
        .value_kind:     hidden_group_size_x
      - .offset:         30
        .size:           2
        .value_kind:     hidden_group_size_y
      - .offset:         32
        .size:           2
        .value_kind:     hidden_group_size_z
      - .offset:         34
        .size:           2
        .value_kind:     hidden_remainder_x
      - .offset:         36
        .size:           2
        .value_kind:     hidden_remainder_y
      - .offset:         38
        .size:           2
        .value_kind:     hidden_remainder_z
      - .offset:         56
        .size:           8
        .value_kind:     hidden_global_offset_x
      - .offset:         64
        .size:           8
        .value_kind:     hidden_global_offset_y
      - .offset:         72
        .size:           8
        .value_kind:     hidden_global_offset_z
      - .offset:         80
        .size:           2
        .value_kind:     hidden_grid_dims
    .group_segment_fixed_size: 0
    .kernarg_segment_align: 8
    .kernarg_segment_size: 272
    .language:       OpenCL C
    .language_version:
      - 2
      - 0
    .max_flat_workgroup_size: 1024
    .name:           _Z19shuffle_down_kernelILj32EfEvPT0_j
    .private_segment_fixed_size: 0
    .sgpr_count:     11
    .sgpr_spill_count: 0
    .symbol:         _Z19shuffle_down_kernelILj32EfEvPT0_j.kd
    .uniform_work_group_size: 1
    .uses_dynamic_stack: false
    .vgpr_count:     6
    .vgpr_spill_count: 0
    .wavefront_size: 64
  - .agpr_count:     0
    .args:
      - .address_space:  global
        .offset:         0
        .size:           8
        .value_kind:     global_buffer
      - .offset:         8
        .size:           4
        .value_kind:     by_value
      - .offset:         16
        .size:           4
        .value_kind:     hidden_block_count_x
      - .offset:         20
        .size:           4
        .value_kind:     hidden_block_count_y
      - .offset:         24
        .size:           4
        .value_kind:     hidden_block_count_z
      - .offset:         28
        .size:           2
        .value_kind:     hidden_group_size_x
      - .offset:         30
        .size:           2
        .value_kind:     hidden_group_size_y
      - .offset:         32
        .size:           2
        .value_kind:     hidden_group_size_z
      - .offset:         34
        .size:           2
        .value_kind:     hidden_remainder_x
      - .offset:         36
        .size:           2
        .value_kind:     hidden_remainder_y
      - .offset:         38
        .size:           2
        .value_kind:     hidden_remainder_z
      - .offset:         56
        .size:           8
        .value_kind:     hidden_global_offset_x
      - .offset:         64
        .size:           8
        .value_kind:     hidden_global_offset_y
      - .offset:         72
        .size:           8
        .value_kind:     hidden_global_offset_z
      - .offset:         80
        .size:           2
        .value_kind:     hidden_grid_dims
    .group_segment_fixed_size: 0
    .kernarg_segment_align: 8
    .kernarg_segment_size: 272
    .language:       OpenCL C
    .language_version:
      - 2
      - 0
    .max_flat_workgroup_size: 1024
    .name:           _Z19shuffle_down_kernelILj2EiEvPT0_j
    .private_segment_fixed_size: 0
    .sgpr_count:     11
    .sgpr_spill_count: 0
    .symbol:         _Z19shuffle_down_kernelILj2EiEvPT0_j.kd
    .uniform_work_group_size: 1
    .uses_dynamic_stack: false
    .vgpr_count:     6
    .vgpr_spill_count: 0
    .wavefront_size: 64
  - .agpr_count:     0
    .args:
      - .address_space:  global
        .offset:         0
        .size:           8
        .value_kind:     global_buffer
      - .offset:         8
        .size:           4
        .value_kind:     by_value
      - .offset:         16
        .size:           4
        .value_kind:     hidden_block_count_x
      - .offset:         20
        .size:           4
        .value_kind:     hidden_block_count_y
      - .offset:         24
        .size:           4
        .value_kind:     hidden_block_count_z
      - .offset:         28
        .size:           2
        .value_kind:     hidden_group_size_x
      - .offset:         30
        .size:           2
        .value_kind:     hidden_group_size_y
      - .offset:         32
        .size:           2
        .value_kind:     hidden_group_size_z
      - .offset:         34
        .size:           2
        .value_kind:     hidden_remainder_x
      - .offset:         36
        .size:           2
        .value_kind:     hidden_remainder_y
      - .offset:         38
        .size:           2
        .value_kind:     hidden_remainder_z
      - .offset:         56
        .size:           8
        .value_kind:     hidden_global_offset_x
      - .offset:         64
        .size:           8
        .value_kind:     hidden_global_offset_y
      - .offset:         72
        .size:           8
        .value_kind:     hidden_global_offset_z
      - .offset:         80
        .size:           2
        .value_kind:     hidden_grid_dims
    .group_segment_fixed_size: 0
    .kernarg_segment_align: 8
    .kernarg_segment_size: 272
    .language:       OpenCL C
    .language_version:
      - 2
      - 0
    .max_flat_workgroup_size: 1024
    .name:           _Z19shuffle_down_kernelILj4EiEvPT0_j
    .private_segment_fixed_size: 0
    .sgpr_count:     11
    .sgpr_spill_count: 0
    .symbol:         _Z19shuffle_down_kernelILj4EiEvPT0_j.kd
    .uniform_work_group_size: 1
    .uses_dynamic_stack: false
    .vgpr_count:     6
    .vgpr_spill_count: 0
    .wavefront_size: 64
  - .agpr_count:     0
    .args:
      - .address_space:  global
        .offset:         0
        .size:           8
        .value_kind:     global_buffer
      - .offset:         8
        .size:           4
        .value_kind:     by_value
      - .offset:         16
        .size:           4
        .value_kind:     hidden_block_count_x
      - .offset:         20
        .size:           4
        .value_kind:     hidden_block_count_y
      - .offset:         24
        .size:           4
        .value_kind:     hidden_block_count_z
      - .offset:         28
        .size:           2
        .value_kind:     hidden_group_size_x
      - .offset:         30
        .size:           2
        .value_kind:     hidden_group_size_y
      - .offset:         32
        .size:           2
        .value_kind:     hidden_group_size_z
      - .offset:         34
        .size:           2
        .value_kind:     hidden_remainder_x
      - .offset:         36
        .size:           2
        .value_kind:     hidden_remainder_y
      - .offset:         38
        .size:           2
        .value_kind:     hidden_remainder_z
      - .offset:         56
        .size:           8
        .value_kind:     hidden_global_offset_x
      - .offset:         64
        .size:           8
        .value_kind:     hidden_global_offset_y
      - .offset:         72
        .size:           8
        .value_kind:     hidden_global_offset_z
      - .offset:         80
        .size:           2
        .value_kind:     hidden_grid_dims
    .group_segment_fixed_size: 0
    .kernarg_segment_align: 8
    .kernarg_segment_size: 272
    .language:       OpenCL C
    .language_version:
      - 2
      - 0
    .max_flat_workgroup_size: 1024
    .name:           _Z19shuffle_down_kernelILj8EiEvPT0_j
    .private_segment_fixed_size: 0
    .sgpr_count:     11
    .sgpr_spill_count: 0
    .symbol:         _Z19shuffle_down_kernelILj8EiEvPT0_j.kd
    .uniform_work_group_size: 1
    .uses_dynamic_stack: false
    .vgpr_count:     6
    .vgpr_spill_count: 0
    .wavefront_size: 64
  - .agpr_count:     0
    .args:
      - .address_space:  global
        .offset:         0
        .size:           8
        .value_kind:     global_buffer
      - .offset:         8
        .size:           4
        .value_kind:     by_value
      - .offset:         16
        .size:           4
        .value_kind:     hidden_block_count_x
      - .offset:         20
        .size:           4
        .value_kind:     hidden_block_count_y
      - .offset:         24
        .size:           4
        .value_kind:     hidden_block_count_z
      - .offset:         28
        .size:           2
        .value_kind:     hidden_group_size_x
      - .offset:         30
        .size:           2
        .value_kind:     hidden_group_size_y
      - .offset:         32
        .size:           2
        .value_kind:     hidden_group_size_z
      - .offset:         34
        .size:           2
        .value_kind:     hidden_remainder_x
      - .offset:         36
        .size:           2
        .value_kind:     hidden_remainder_y
      - .offset:         38
        .size:           2
        .value_kind:     hidden_remainder_z
      - .offset:         56
        .size:           8
        .value_kind:     hidden_global_offset_x
      - .offset:         64
        .size:           8
        .value_kind:     hidden_global_offset_y
      - .offset:         72
        .size:           8
        .value_kind:     hidden_global_offset_z
      - .offset:         80
        .size:           2
        .value_kind:     hidden_grid_dims
    .group_segment_fixed_size: 0
    .kernarg_segment_align: 8
    .kernarg_segment_size: 272
    .language:       OpenCL C
    .language_version:
      - 2
      - 0
    .max_flat_workgroup_size: 1024
    .name:           _Z19shuffle_down_kernelILj16EiEvPT0_j
    .private_segment_fixed_size: 0
    .sgpr_count:     11
    .sgpr_spill_count: 0
    .symbol:         _Z19shuffle_down_kernelILj16EiEvPT0_j.kd
    .uniform_work_group_size: 1
    .uses_dynamic_stack: false
    .vgpr_count:     6
    .vgpr_spill_count: 0
    .wavefront_size: 64
  - .agpr_count:     0
    .args:
      - .address_space:  global
        .offset:         0
        .size:           8
        .value_kind:     global_buffer
      - .offset:         8
        .size:           4
        .value_kind:     by_value
      - .offset:         16
        .size:           4
        .value_kind:     hidden_block_count_x
      - .offset:         20
        .size:           4
        .value_kind:     hidden_block_count_y
      - .offset:         24
        .size:           4
        .value_kind:     hidden_block_count_z
      - .offset:         28
        .size:           2
        .value_kind:     hidden_group_size_x
      - .offset:         30
        .size:           2
        .value_kind:     hidden_group_size_y
      - .offset:         32
        .size:           2
        .value_kind:     hidden_group_size_z
      - .offset:         34
        .size:           2
        .value_kind:     hidden_remainder_x
      - .offset:         36
        .size:           2
        .value_kind:     hidden_remainder_y
      - .offset:         38
        .size:           2
        .value_kind:     hidden_remainder_z
      - .offset:         56
        .size:           8
        .value_kind:     hidden_global_offset_x
      - .offset:         64
        .size:           8
        .value_kind:     hidden_global_offset_y
      - .offset:         72
        .size:           8
        .value_kind:     hidden_global_offset_z
      - .offset:         80
        .size:           2
        .value_kind:     hidden_grid_dims
    .group_segment_fixed_size: 0
    .kernarg_segment_align: 8
    .kernarg_segment_size: 272
    .language:       OpenCL C
    .language_version:
      - 2
      - 0
    .max_flat_workgroup_size: 1024
    .name:           _Z19shuffle_down_kernelILj32EiEvPT0_j
    .private_segment_fixed_size: 0
    .sgpr_count:     11
    .sgpr_spill_count: 0
    .symbol:         _Z19shuffle_down_kernelILj32EiEvPT0_j.kd
    .uniform_work_group_size: 1
    .uses_dynamic_stack: false
    .vgpr_count:     6
    .vgpr_spill_count: 0
    .wavefront_size: 64
  - .agpr_count:     0
    .args:
      - .address_space:  global
        .offset:         0
        .size:           8
        .value_kind:     global_buffer
      - .address_space:  global
        .offset:         8
        .size:           8
        .value_kind:     global_buffer
      - .offset:         16
        .size:           4
        .value_kind:     hidden_block_count_x
      - .offset:         20
        .size:           4
        .value_kind:     hidden_block_count_y
      - .offset:         24
        .size:           4
        .value_kind:     hidden_block_count_z
      - .offset:         28
        .size:           2
        .value_kind:     hidden_group_size_x
      - .offset:         30
        .size:           2
        .value_kind:     hidden_group_size_y
      - .offset:         32
        .size:           2
        .value_kind:     hidden_group_size_z
      - .offset:         34
        .size:           2
        .value_kind:     hidden_remainder_x
      - .offset:         36
        .size:           2
        .value_kind:     hidden_remainder_y
      - .offset:         38
        .size:           2
        .value_kind:     hidden_remainder_z
      - .offset:         56
        .size:           8
        .value_kind:     hidden_global_offset_x
      - .offset:         64
        .size:           8
        .value_kind:     hidden_global_offset_y
      - .offset:         72
        .size:           8
        .value_kind:     hidden_global_offset_z
      - .offset:         80
        .size:           2
        .value_kind:     hidden_grid_dims
    .group_segment_fixed_size: 0
    .kernarg_segment_align: 8
    .kernarg_segment_size: 272
    .language:       OpenCL C
    .language_version:
      - 2
      - 0
    .max_flat_workgroup_size: 1024
    .name:           _Z20shuffle_index_kernelILj64E12hip_bfloat16EvPT0_Pi
    .private_segment_fixed_size: 0
    .sgpr_count:     12
    .sgpr_spill_count: 0
    .symbol:         _Z20shuffle_index_kernelILj64E12hip_bfloat16EvPT0_Pi.kd
    .uniform_work_group_size: 1
    .uses_dynamic_stack: false
    .vgpr_count:     5
    .vgpr_spill_count: 0
    .wavefront_size: 64
  - .agpr_count:     0
    .args:
      - .address_space:  global
        .offset:         0
        .size:           8
        .value_kind:     global_buffer
      - .address_space:  global
        .offset:         8
        .size:           8
        .value_kind:     global_buffer
      - .offset:         16
        .size:           4
        .value_kind:     hidden_block_count_x
      - .offset:         20
        .size:           4
        .value_kind:     hidden_block_count_y
      - .offset:         24
        .size:           4
        .value_kind:     hidden_block_count_z
      - .offset:         28
        .size:           2
        .value_kind:     hidden_group_size_x
      - .offset:         30
        .size:           2
        .value_kind:     hidden_group_size_y
      - .offset:         32
        .size:           2
        .value_kind:     hidden_group_size_z
      - .offset:         34
        .size:           2
        .value_kind:     hidden_remainder_x
      - .offset:         36
        .size:           2
        .value_kind:     hidden_remainder_y
      - .offset:         38
        .size:           2
        .value_kind:     hidden_remainder_z
      - .offset:         56
        .size:           8
        .value_kind:     hidden_global_offset_x
      - .offset:         64
        .size:           8
        .value_kind:     hidden_global_offset_y
      - .offset:         72
        .size:           8
        .value_kind:     hidden_global_offset_z
      - .offset:         80
        .size:           2
        .value_kind:     hidden_grid_dims
    .group_segment_fixed_size: 0
    .kernarg_segment_align: 8
    .kernarg_segment_size: 272
    .language:       OpenCL C
    .language_version:
      - 2
      - 0
    .max_flat_workgroup_size: 1024
    .name:           _Z20shuffle_index_kernelILj64E6__halfEvPT0_Pi
    .private_segment_fixed_size: 0
    .sgpr_count:     12
    .sgpr_spill_count: 0
    .symbol:         _Z20shuffle_index_kernelILj64E6__halfEvPT0_Pi.kd
    .uniform_work_group_size: 1
    .uses_dynamic_stack: false
    .vgpr_count:     5
    .vgpr_spill_count: 0
    .wavefront_size: 64
  - .agpr_count:     0
    .args:
      - .address_space:  global
        .offset:         0
        .size:           8
        .value_kind:     global_buffer
      - .address_space:  global
        .offset:         8
        .size:           8
        .value_kind:     global_buffer
      - .offset:         16
        .size:           4
        .value_kind:     hidden_block_count_x
      - .offset:         20
        .size:           4
        .value_kind:     hidden_block_count_y
      - .offset:         24
        .size:           4
        .value_kind:     hidden_block_count_z
      - .offset:         28
        .size:           2
        .value_kind:     hidden_group_size_x
      - .offset:         30
        .size:           2
        .value_kind:     hidden_group_size_y
      - .offset:         32
        .size:           2
        .value_kind:     hidden_group_size_z
      - .offset:         34
        .size:           2
        .value_kind:     hidden_remainder_x
      - .offset:         36
        .size:           2
        .value_kind:     hidden_remainder_y
      - .offset:         38
        .size:           2
        .value_kind:     hidden_remainder_z
      - .offset:         56
        .size:           8
        .value_kind:     hidden_global_offset_x
      - .offset:         64
        .size:           8
        .value_kind:     hidden_global_offset_y
      - .offset:         72
        .size:           8
        .value_kind:     hidden_global_offset_z
      - .offset:         80
        .size:           2
        .value_kind:     hidden_grid_dims
    .group_segment_fixed_size: 0
    .kernarg_segment_align: 8
    .kernarg_segment_size: 272
    .language:       OpenCL C
    .language_version:
      - 2
      - 0
    .max_flat_workgroup_size: 1024
    .name:           _Z20shuffle_index_kernelILj64EhEvPT0_Pi
    .private_segment_fixed_size: 0
    .sgpr_count:     12
    .sgpr_spill_count: 0
    .symbol:         _Z20shuffle_index_kernelILj64EhEvPT0_Pi.kd
    .uniform_work_group_size: 1
    .uses_dynamic_stack: false
    .vgpr_count:     4
    .vgpr_spill_count: 0
    .wavefront_size: 64
  - .agpr_count:     0
    .args:
      - .address_space:  global
        .offset:         0
        .size:           8
        .value_kind:     global_buffer
      - .address_space:  global
        .offset:         8
        .size:           8
        .value_kind:     global_buffer
      - .offset:         16
        .size:           4
        .value_kind:     hidden_block_count_x
      - .offset:         20
        .size:           4
        .value_kind:     hidden_block_count_y
      - .offset:         24
        .size:           4
        .value_kind:     hidden_block_count_z
      - .offset:         28
        .size:           2
        .value_kind:     hidden_group_size_x
      - .offset:         30
        .size:           2
        .value_kind:     hidden_group_size_y
      - .offset:         32
        .size:           2
        .value_kind:     hidden_group_size_z
      - .offset:         34
        .size:           2
        .value_kind:     hidden_remainder_x
      - .offset:         36
        .size:           2
        .value_kind:     hidden_remainder_y
      - .offset:         38
        .size:           2
        .value_kind:     hidden_remainder_z
      - .offset:         56
        .size:           8
        .value_kind:     hidden_global_offset_x
      - .offset:         64
        .size:           8
        .value_kind:     hidden_global_offset_y
      - .offset:         72
        .size:           8
        .value_kind:     hidden_global_offset_z
      - .offset:         80
        .size:           2
        .value_kind:     hidden_grid_dims
    .group_segment_fixed_size: 0
    .kernarg_segment_align: 8
    .kernarg_segment_size: 272
    .language:       OpenCL C
    .language_version:
      - 2
      - 0
    .max_flat_workgroup_size: 1024
    .name:           _Z20shuffle_index_kernelILj64EdEvPT0_Pi
    .private_segment_fixed_size: 0
    .sgpr_count:     12
    .sgpr_spill_count: 0
    .symbol:         _Z20shuffle_index_kernelILj64EdEvPT0_Pi.kd
    .uniform_work_group_size: 1
    .uses_dynamic_stack: false
    .vgpr_count:     6
    .vgpr_spill_count: 0
    .wavefront_size: 64
  - .agpr_count:     0
    .args:
      - .address_space:  global
        .offset:         0
        .size:           8
        .value_kind:     global_buffer
      - .address_space:  global
        .offset:         8
        .size:           8
        .value_kind:     global_buffer
      - .offset:         16
        .size:           4
        .value_kind:     hidden_block_count_x
      - .offset:         20
        .size:           4
        .value_kind:     hidden_block_count_y
      - .offset:         24
        .size:           4
        .value_kind:     hidden_block_count_z
      - .offset:         28
        .size:           2
        .value_kind:     hidden_group_size_x
      - .offset:         30
        .size:           2
        .value_kind:     hidden_group_size_y
      - .offset:         32
        .size:           2
        .value_kind:     hidden_group_size_z
      - .offset:         34
        .size:           2
        .value_kind:     hidden_remainder_x
      - .offset:         36
        .size:           2
        .value_kind:     hidden_remainder_y
      - .offset:         38
        .size:           2
        .value_kind:     hidden_remainder_z
      - .offset:         56
        .size:           8
        .value_kind:     hidden_global_offset_x
      - .offset:         64
        .size:           8
        .value_kind:     hidden_global_offset_y
      - .offset:         72
        .size:           8
        .value_kind:     hidden_global_offset_z
      - .offset:         80
        .size:           2
        .value_kind:     hidden_grid_dims
    .group_segment_fixed_size: 0
    .kernarg_segment_align: 8
    .kernarg_segment_size: 272
    .language:       OpenCL C
    .language_version:
      - 2
      - 0
    .max_flat_workgroup_size: 1024
    .name:           _Z20shuffle_index_kernelILj64EfEvPT0_Pi
    .private_segment_fixed_size: 0
    .sgpr_count:     12
    .sgpr_spill_count: 0
    .symbol:         _Z20shuffle_index_kernelILj64EfEvPT0_Pi.kd
    .uniform_work_group_size: 1
    .uses_dynamic_stack: false
    .vgpr_count:     5
    .vgpr_spill_count: 0
    .wavefront_size: 64
  - .agpr_count:     0
    .args:
      - .address_space:  global
        .offset:         0
        .size:           8
        .value_kind:     global_buffer
      - .address_space:  global
        .offset:         8
        .size:           8
        .value_kind:     global_buffer
      - .offset:         16
        .size:           4
        .value_kind:     hidden_block_count_x
      - .offset:         20
        .size:           4
        .value_kind:     hidden_block_count_y
      - .offset:         24
        .size:           4
        .value_kind:     hidden_block_count_z
      - .offset:         28
        .size:           2
        .value_kind:     hidden_group_size_x
      - .offset:         30
        .size:           2
        .value_kind:     hidden_group_size_y
      - .offset:         32
        .size:           2
        .value_kind:     hidden_group_size_z
      - .offset:         34
        .size:           2
        .value_kind:     hidden_remainder_x
      - .offset:         36
        .size:           2
        .value_kind:     hidden_remainder_y
      - .offset:         38
        .size:           2
        .value_kind:     hidden_remainder_z
      - .offset:         56
        .size:           8
        .value_kind:     hidden_global_offset_x
      - .offset:         64
        .size:           8
        .value_kind:     hidden_global_offset_y
      - .offset:         72
        .size:           8
        .value_kind:     hidden_global_offset_z
      - .offset:         80
        .size:           2
        .value_kind:     hidden_grid_dims
    .group_segment_fixed_size: 0
    .kernarg_segment_align: 8
    .kernarg_segment_size: 272
    .language:       OpenCL C
    .language_version:
      - 2
      - 0
    .max_flat_workgroup_size: 1024
    .name:           _Z20shuffle_index_kernelILj32EhEvPT0_Pi
    .private_segment_fixed_size: 0
    .sgpr_count:     12
    .sgpr_spill_count: 0
    .symbol:         _Z20shuffle_index_kernelILj32EhEvPT0_Pi.kd
    .uniform_work_group_size: 1
    .uses_dynamic_stack: false
    .vgpr_count:     4
    .vgpr_spill_count: 0
    .wavefront_size: 64
  - .agpr_count:     0
    .args:
      - .address_space:  global
        .offset:         0
        .size:           8
        .value_kind:     global_buffer
      - .address_space:  global
        .offset:         8
        .size:           8
        .value_kind:     global_buffer
      - .offset:         16
        .size:           4
        .value_kind:     hidden_block_count_x
      - .offset:         20
        .size:           4
        .value_kind:     hidden_block_count_y
      - .offset:         24
        .size:           4
        .value_kind:     hidden_block_count_z
      - .offset:         28
        .size:           2
        .value_kind:     hidden_group_size_x
      - .offset:         30
        .size:           2
        .value_kind:     hidden_group_size_y
      - .offset:         32
        .size:           2
        .value_kind:     hidden_group_size_z
      - .offset:         34
        .size:           2
        .value_kind:     hidden_remainder_x
      - .offset:         36
        .size:           2
        .value_kind:     hidden_remainder_y
      - .offset:         38
        .size:           2
        .value_kind:     hidden_remainder_z
      - .offset:         56
        .size:           8
        .value_kind:     hidden_global_offset_x
      - .offset:         64
        .size:           8
        .value_kind:     hidden_global_offset_y
      - .offset:         72
        .size:           8
        .value_kind:     hidden_global_offset_z
      - .offset:         80
        .size:           2
        .value_kind:     hidden_grid_dims
    .group_segment_fixed_size: 0
    .kernarg_segment_align: 8
    .kernarg_segment_size: 272
    .language:       OpenCL C
    .language_version:
      - 2
      - 0
    .max_flat_workgroup_size: 1024
    .name:           _Z20shuffle_index_kernelILj32E12hip_bfloat16EvPT0_Pi
    .private_segment_fixed_size: 0
    .sgpr_count:     12
    .sgpr_spill_count: 0
    .symbol:         _Z20shuffle_index_kernelILj32E12hip_bfloat16EvPT0_Pi.kd
    .uniform_work_group_size: 1
    .uses_dynamic_stack: false
    .vgpr_count:     5
    .vgpr_spill_count: 0
    .wavefront_size: 64
  - .agpr_count:     0
    .args:
      - .address_space:  global
        .offset:         0
        .size:           8
        .value_kind:     global_buffer
      - .address_space:  global
        .offset:         8
        .size:           8
        .value_kind:     global_buffer
      - .offset:         16
        .size:           4
        .value_kind:     hidden_block_count_x
      - .offset:         20
        .size:           4
        .value_kind:     hidden_block_count_y
      - .offset:         24
        .size:           4
        .value_kind:     hidden_block_count_z
      - .offset:         28
        .size:           2
        .value_kind:     hidden_group_size_x
      - .offset:         30
        .size:           2
        .value_kind:     hidden_group_size_y
      - .offset:         32
        .size:           2
        .value_kind:     hidden_group_size_z
      - .offset:         34
        .size:           2
        .value_kind:     hidden_remainder_x
      - .offset:         36
        .size:           2
        .value_kind:     hidden_remainder_y
      - .offset:         38
        .size:           2
        .value_kind:     hidden_remainder_z
      - .offset:         56
        .size:           8
        .value_kind:     hidden_global_offset_x
      - .offset:         64
        .size:           8
        .value_kind:     hidden_global_offset_y
      - .offset:         72
        .size:           8
        .value_kind:     hidden_global_offset_z
      - .offset:         80
        .size:           2
        .value_kind:     hidden_grid_dims
    .group_segment_fixed_size: 0
    .kernarg_segment_align: 8
    .kernarg_segment_size: 272
    .language:       OpenCL C
    .language_version:
      - 2
      - 0
    .max_flat_workgroup_size: 1024
    .name:           _Z20shuffle_index_kernelILj32E6__halfEvPT0_Pi
    .private_segment_fixed_size: 0
    .sgpr_count:     12
    .sgpr_spill_count: 0
    .symbol:         _Z20shuffle_index_kernelILj32E6__halfEvPT0_Pi.kd
    .uniform_work_group_size: 1
    .uses_dynamic_stack: false
    .vgpr_count:     5
    .vgpr_spill_count: 0
    .wavefront_size: 64
  - .agpr_count:     0
    .args:
      - .address_space:  global
        .offset:         0
        .size:           8
        .value_kind:     global_buffer
      - .address_space:  global
        .offset:         8
        .size:           8
        .value_kind:     global_buffer
      - .offset:         16
        .size:           4
        .value_kind:     hidden_block_count_x
      - .offset:         20
        .size:           4
        .value_kind:     hidden_block_count_y
      - .offset:         24
        .size:           4
        .value_kind:     hidden_block_count_z
      - .offset:         28
        .size:           2
        .value_kind:     hidden_group_size_x
      - .offset:         30
        .size:           2
        .value_kind:     hidden_group_size_y
      - .offset:         32
        .size:           2
        .value_kind:     hidden_group_size_z
      - .offset:         34
        .size:           2
        .value_kind:     hidden_remainder_x
      - .offset:         36
        .size:           2
        .value_kind:     hidden_remainder_y
      - .offset:         38
        .size:           2
        .value_kind:     hidden_remainder_z
      - .offset:         56
        .size:           8
        .value_kind:     hidden_global_offset_x
      - .offset:         64
        .size:           8
        .value_kind:     hidden_global_offset_y
      - .offset:         72
        .size:           8
        .value_kind:     hidden_global_offset_z
      - .offset:         80
        .size:           2
        .value_kind:     hidden_grid_dims
    .group_segment_fixed_size: 0
    .kernarg_segment_align: 8
    .kernarg_segment_size: 272
    .language:       OpenCL C
    .language_version:
      - 2
      - 0
    .max_flat_workgroup_size: 1024
    .name:           _Z20shuffle_index_kernelILj32EdEvPT0_Pi
    .private_segment_fixed_size: 0
    .sgpr_count:     12
    .sgpr_spill_count: 0
    .symbol:         _Z20shuffle_index_kernelILj32EdEvPT0_Pi.kd
    .uniform_work_group_size: 1
    .uses_dynamic_stack: false
    .vgpr_count:     6
    .vgpr_spill_count: 0
    .wavefront_size: 64
  - .agpr_count:     0
    .args:
      - .address_space:  global
        .offset:         0
        .size:           8
        .value_kind:     global_buffer
      - .address_space:  global
        .offset:         8
        .size:           8
        .value_kind:     global_buffer
      - .offset:         16
        .size:           4
        .value_kind:     hidden_block_count_x
      - .offset:         20
        .size:           4
        .value_kind:     hidden_block_count_y
      - .offset:         24
        .size:           4
        .value_kind:     hidden_block_count_z
      - .offset:         28
        .size:           2
        .value_kind:     hidden_group_size_x
      - .offset:         30
        .size:           2
        .value_kind:     hidden_group_size_y
      - .offset:         32
        .size:           2
        .value_kind:     hidden_group_size_z
      - .offset:         34
        .size:           2
        .value_kind:     hidden_remainder_x
      - .offset:         36
        .size:           2
        .value_kind:     hidden_remainder_y
      - .offset:         38
        .size:           2
        .value_kind:     hidden_remainder_z
      - .offset:         56
        .size:           8
        .value_kind:     hidden_global_offset_x
      - .offset:         64
        .size:           8
        .value_kind:     hidden_global_offset_y
      - .offset:         72
        .size:           8
        .value_kind:     hidden_global_offset_z
      - .offset:         80
        .size:           2
        .value_kind:     hidden_grid_dims
    .group_segment_fixed_size: 0
    .kernarg_segment_align: 8
    .kernarg_segment_size: 272
    .language:       OpenCL C
    .language_version:
      - 2
      - 0
    .max_flat_workgroup_size: 1024
    .name:           _Z20shuffle_index_kernelILj32EfEvPT0_Pi
    .private_segment_fixed_size: 0
    .sgpr_count:     12
    .sgpr_spill_count: 0
    .symbol:         _Z20shuffle_index_kernelILj32EfEvPT0_Pi.kd
    .uniform_work_group_size: 1
    .uses_dynamic_stack: false
    .vgpr_count:     5
    .vgpr_spill_count: 0
    .wavefront_size: 64
  - .agpr_count:     0
    .args:
      - .address_space:  global
        .offset:         0
        .size:           8
        .value_kind:     global_buffer
      - .address_space:  global
        .offset:         8
        .size:           8
        .value_kind:     global_buffer
      - .offset:         16
        .size:           4
        .value_kind:     hidden_block_count_x
      - .offset:         20
        .size:           4
        .value_kind:     hidden_block_count_y
      - .offset:         24
        .size:           4
        .value_kind:     hidden_block_count_z
      - .offset:         28
        .size:           2
        .value_kind:     hidden_group_size_x
      - .offset:         30
        .size:           2
        .value_kind:     hidden_group_size_y
      - .offset:         32
        .size:           2
        .value_kind:     hidden_group_size_z
      - .offset:         34
        .size:           2
        .value_kind:     hidden_remainder_x
      - .offset:         36
        .size:           2
        .value_kind:     hidden_remainder_y
      - .offset:         38
        .size:           2
        .value_kind:     hidden_remainder_z
      - .offset:         56
        .size:           8
        .value_kind:     hidden_global_offset_x
      - .offset:         64
        .size:           8
        .value_kind:     hidden_global_offset_y
      - .offset:         72
        .size:           8
        .value_kind:     hidden_global_offset_z
      - .offset:         80
        .size:           2
        .value_kind:     hidden_grid_dims
    .group_segment_fixed_size: 0
    .kernarg_segment_align: 8
    .kernarg_segment_size: 272
    .language:       OpenCL C
    .language_version:
      - 2
      - 0
    .max_flat_workgroup_size: 1024
    .name:           _Z20shuffle_index_kernelILj2EiEvPT0_Pi
    .private_segment_fixed_size: 0
    .sgpr_count:     12
    .sgpr_spill_count: 0
    .symbol:         _Z20shuffle_index_kernelILj2EiEvPT0_Pi.kd
    .uniform_work_group_size: 1
    .uses_dynamic_stack: false
    .vgpr_count:     5
    .vgpr_spill_count: 0
    .wavefront_size: 64
  - .agpr_count:     0
    .args:
      - .address_space:  global
        .offset:         0
        .size:           8
        .value_kind:     global_buffer
      - .address_space:  global
        .offset:         8
        .size:           8
        .value_kind:     global_buffer
      - .offset:         16
        .size:           4
        .value_kind:     hidden_block_count_x
      - .offset:         20
        .size:           4
        .value_kind:     hidden_block_count_y
      - .offset:         24
        .size:           4
        .value_kind:     hidden_block_count_z
      - .offset:         28
        .size:           2
        .value_kind:     hidden_group_size_x
      - .offset:         30
        .size:           2
        .value_kind:     hidden_group_size_y
      - .offset:         32
        .size:           2
        .value_kind:     hidden_group_size_z
      - .offset:         34
        .size:           2
        .value_kind:     hidden_remainder_x
      - .offset:         36
        .size:           2
        .value_kind:     hidden_remainder_y
      - .offset:         38
        .size:           2
        .value_kind:     hidden_remainder_z
      - .offset:         56
        .size:           8
        .value_kind:     hidden_global_offset_x
      - .offset:         64
        .size:           8
        .value_kind:     hidden_global_offset_y
      - .offset:         72
        .size:           8
        .value_kind:     hidden_global_offset_z
      - .offset:         80
        .size:           2
        .value_kind:     hidden_grid_dims
    .group_segment_fixed_size: 0
    .kernarg_segment_align: 8
    .kernarg_segment_size: 272
    .language:       OpenCL C
    .language_version:
      - 2
      - 0
    .max_flat_workgroup_size: 1024
    .name:           _Z20shuffle_index_kernelILj4EiEvPT0_Pi
    .private_segment_fixed_size: 0
    .sgpr_count:     12
    .sgpr_spill_count: 0
    .symbol:         _Z20shuffle_index_kernelILj4EiEvPT0_Pi.kd
    .uniform_work_group_size: 1
    .uses_dynamic_stack: false
    .vgpr_count:     5
    .vgpr_spill_count: 0
    .wavefront_size: 64
  - .agpr_count:     0
    .args:
      - .address_space:  global
        .offset:         0
        .size:           8
        .value_kind:     global_buffer
      - .address_space:  global
        .offset:         8
        .size:           8
        .value_kind:     global_buffer
      - .offset:         16
        .size:           4
        .value_kind:     hidden_block_count_x
      - .offset:         20
        .size:           4
        .value_kind:     hidden_block_count_y
      - .offset:         24
        .size:           4
        .value_kind:     hidden_block_count_z
      - .offset:         28
        .size:           2
        .value_kind:     hidden_group_size_x
      - .offset:         30
        .size:           2
        .value_kind:     hidden_group_size_y
      - .offset:         32
        .size:           2
        .value_kind:     hidden_group_size_z
      - .offset:         34
        .size:           2
        .value_kind:     hidden_remainder_x
      - .offset:         36
        .size:           2
        .value_kind:     hidden_remainder_y
      - .offset:         38
        .size:           2
        .value_kind:     hidden_remainder_z
      - .offset:         56
        .size:           8
        .value_kind:     hidden_global_offset_x
      - .offset:         64
        .size:           8
        .value_kind:     hidden_global_offset_y
      - .offset:         72
        .size:           8
        .value_kind:     hidden_global_offset_z
      - .offset:         80
        .size:           2
        .value_kind:     hidden_grid_dims
    .group_segment_fixed_size: 0
    .kernarg_segment_align: 8
    .kernarg_segment_size: 272
    .language:       OpenCL C
    .language_version:
      - 2
      - 0
    .max_flat_workgroup_size: 1024
    .name:           _Z20shuffle_index_kernelILj8EiEvPT0_Pi
    .private_segment_fixed_size: 0
    .sgpr_count:     12
    .sgpr_spill_count: 0
    .symbol:         _Z20shuffle_index_kernelILj8EiEvPT0_Pi.kd
    .uniform_work_group_size: 1
    .uses_dynamic_stack: false
    .vgpr_count:     5
    .vgpr_spill_count: 0
    .wavefront_size: 64
  - .agpr_count:     0
    .args:
      - .address_space:  global
        .offset:         0
        .size:           8
        .value_kind:     global_buffer
      - .address_space:  global
        .offset:         8
        .size:           8
        .value_kind:     global_buffer
      - .offset:         16
        .size:           4
        .value_kind:     hidden_block_count_x
      - .offset:         20
        .size:           4
        .value_kind:     hidden_block_count_y
      - .offset:         24
        .size:           4
        .value_kind:     hidden_block_count_z
      - .offset:         28
        .size:           2
        .value_kind:     hidden_group_size_x
      - .offset:         30
        .size:           2
        .value_kind:     hidden_group_size_y
      - .offset:         32
        .size:           2
        .value_kind:     hidden_group_size_z
      - .offset:         34
        .size:           2
        .value_kind:     hidden_remainder_x
      - .offset:         36
        .size:           2
        .value_kind:     hidden_remainder_y
      - .offset:         38
        .size:           2
        .value_kind:     hidden_remainder_z
      - .offset:         56
        .size:           8
        .value_kind:     hidden_global_offset_x
      - .offset:         64
        .size:           8
        .value_kind:     hidden_global_offset_y
      - .offset:         72
        .size:           8
        .value_kind:     hidden_global_offset_z
      - .offset:         80
        .size:           2
        .value_kind:     hidden_grid_dims
    .group_segment_fixed_size: 0
    .kernarg_segment_align: 8
    .kernarg_segment_size: 272
    .language:       OpenCL C
    .language_version:
      - 2
      - 0
    .max_flat_workgroup_size: 1024
    .name:           _Z20shuffle_index_kernelILj16EiEvPT0_Pi
    .private_segment_fixed_size: 0
    .sgpr_count:     12
    .sgpr_spill_count: 0
    .symbol:         _Z20shuffle_index_kernelILj16EiEvPT0_Pi.kd
    .uniform_work_group_size: 1
    .uses_dynamic_stack: false
    .vgpr_count:     5
    .vgpr_spill_count: 0
    .wavefront_size: 64
  - .agpr_count:     0
    .args:
      - .address_space:  global
        .offset:         0
        .size:           8
        .value_kind:     global_buffer
      - .address_space:  global
        .offset:         8
        .size:           8
        .value_kind:     global_buffer
      - .offset:         16
        .size:           4
        .value_kind:     hidden_block_count_x
      - .offset:         20
        .size:           4
        .value_kind:     hidden_block_count_y
      - .offset:         24
        .size:           4
        .value_kind:     hidden_block_count_z
      - .offset:         28
        .size:           2
        .value_kind:     hidden_group_size_x
      - .offset:         30
        .size:           2
        .value_kind:     hidden_group_size_y
      - .offset:         32
        .size:           2
        .value_kind:     hidden_group_size_z
      - .offset:         34
        .size:           2
        .value_kind:     hidden_remainder_x
      - .offset:         36
        .size:           2
        .value_kind:     hidden_remainder_y
      - .offset:         38
        .size:           2
        .value_kind:     hidden_remainder_z
      - .offset:         56
        .size:           8
        .value_kind:     hidden_global_offset_x
      - .offset:         64
        .size:           8
        .value_kind:     hidden_global_offset_y
      - .offset:         72
        .size:           8
        .value_kind:     hidden_global_offset_z
      - .offset:         80
        .size:           2
        .value_kind:     hidden_grid_dims
    .group_segment_fixed_size: 0
    .kernarg_segment_align: 8
    .kernarg_segment_size: 272
    .language:       OpenCL C
    .language_version:
      - 2
      - 0
    .max_flat_workgroup_size: 1024
    .name:           _Z20shuffle_index_kernelILj32EiEvPT0_Pi
    .private_segment_fixed_size: 0
    .sgpr_count:     12
    .sgpr_spill_count: 0
    .symbol:         _Z20shuffle_index_kernelILj32EiEvPT0_Pi.kd
    .uniform_work_group_size: 1
    .uses_dynamic_stack: false
    .vgpr_count:     5
    .vgpr_spill_count: 0
    .wavefront_size: 64
  - .agpr_count:     0
    .args:
      - .address_space:  global
        .offset:         0
        .size:           8
        .value_kind:     global_buffer
      - .offset:         8
        .size:           4
        .value_kind:     by_value
      - .offset:         16
        .size:           4
        .value_kind:     hidden_block_count_x
      - .offset:         20
        .size:           4
        .value_kind:     hidden_block_count_y
      - .offset:         24
        .size:           4
        .value_kind:     hidden_block_count_z
      - .offset:         28
        .size:           2
        .value_kind:     hidden_group_size_x
      - .offset:         30
        .size:           2
        .value_kind:     hidden_group_size_y
      - .offset:         32
        .size:           2
        .value_kind:     hidden_group_size_z
      - .offset:         34
        .size:           2
        .value_kind:     hidden_remainder_x
      - .offset:         36
        .size:           2
        .value_kind:     hidden_remainder_y
      - .offset:         38
        .size:           2
        .value_kind:     hidden_remainder_z
      - .offset:         56
        .size:           8
        .value_kind:     hidden_global_offset_x
      - .offset:         64
        .size:           8
        .value_kind:     hidden_global_offset_y
      - .offset:         72
        .size:           8
        .value_kind:     hidden_global_offset_z
      - .offset:         80
        .size:           2
        .value_kind:     hidden_grid_dims
    .group_segment_fixed_size: 0
    .kernarg_segment_align: 8
    .kernarg_segment_size: 272
    .language:       OpenCL C
    .language_version:
      - 2
      - 0
    .max_flat_workgroup_size: 1024
    .name:           _Z17shuffle_up_kernelILj32E17custom_notalignedEvPT0_j
    .private_segment_fixed_size: 0
    .sgpr_count:     11
    .sgpr_spill_count: 0
    .symbol:         _Z17shuffle_up_kernelILj32E17custom_notalignedEvPT0_j.kd
    .uniform_work_group_size: 1
    .uses_dynamic_stack: false
    .vgpr_count:     11
    .vgpr_spill_count: 0
    .wavefront_size: 64
  - .agpr_count:     0
    .args:
      - .address_space:  global
        .offset:         0
        .size:           8
        .value_kind:     global_buffer
      - .offset:         8
        .size:           4
        .value_kind:     by_value
      - .offset:         16
        .size:           4
        .value_kind:     hidden_block_count_x
      - .offset:         20
        .size:           4
        .value_kind:     hidden_block_count_y
      - .offset:         24
        .size:           4
        .value_kind:     hidden_block_count_z
      - .offset:         28
        .size:           2
        .value_kind:     hidden_group_size_x
      - .offset:         30
        .size:           2
        .value_kind:     hidden_group_size_y
      - .offset:         32
        .size:           2
        .value_kind:     hidden_group_size_z
      - .offset:         34
        .size:           2
        .value_kind:     hidden_remainder_x
      - .offset:         36
        .size:           2
        .value_kind:     hidden_remainder_y
      - .offset:         38
        .size:           2
        .value_kind:     hidden_remainder_z
      - .offset:         56
        .size:           8
        .value_kind:     hidden_global_offset_x
      - .offset:         64
        .size:           8
        .value_kind:     hidden_global_offset_y
      - .offset:         72
        .size:           8
        .value_kind:     hidden_global_offset_z
      - .offset:         80
        .size:           2
        .value_kind:     hidden_grid_dims
    .group_segment_fixed_size: 0
    .kernarg_segment_align: 8
    .kernarg_segment_size: 272
    .language:       OpenCL C
    .language_version:
      - 2
      - 0
    .max_flat_workgroup_size: 1024
    .name:           _Z17shuffle_up_kernelILj64E17custom_notalignedEvPT0_j
    .private_segment_fixed_size: 0
    .sgpr_count:     11
    .sgpr_spill_count: 0
    .symbol:         _Z17shuffle_up_kernelILj64E17custom_notalignedEvPT0_j.kd
    .uniform_work_group_size: 1
    .uses_dynamic_stack: false
    .vgpr_count:     11
    .vgpr_spill_count: 0
    .wavefront_size: 64
  - .agpr_count:     0
    .args:
      - .address_space:  global
        .offset:         0
        .size:           8
        .value_kind:     global_buffer
      - .offset:         8
        .size:           4
        .value_kind:     by_value
      - .offset:         16
        .size:           4
        .value_kind:     hidden_block_count_x
      - .offset:         20
        .size:           4
        .value_kind:     hidden_block_count_y
      - .offset:         24
        .size:           4
        .value_kind:     hidden_block_count_z
      - .offset:         28
        .size:           2
        .value_kind:     hidden_group_size_x
      - .offset:         30
        .size:           2
        .value_kind:     hidden_group_size_y
      - .offset:         32
        .size:           2
        .value_kind:     hidden_group_size_z
      - .offset:         34
        .size:           2
        .value_kind:     hidden_remainder_x
      - .offset:         36
        .size:           2
        .value_kind:     hidden_remainder_y
      - .offset:         38
        .size:           2
        .value_kind:     hidden_remainder_z
      - .offset:         56
        .size:           8
        .value_kind:     hidden_global_offset_x
      - .offset:         64
        .size:           8
        .value_kind:     hidden_global_offset_y
      - .offset:         72
        .size:           8
        .value_kind:     hidden_global_offset_z
      - .offset:         80
        .size:           2
        .value_kind:     hidden_grid_dims
    .group_segment_fixed_size: 0
    .kernarg_segment_align: 8
    .kernarg_segment_size: 272
    .language:       OpenCL C
    .language_version:
      - 2
      - 0
    .max_flat_workgroup_size: 1024
    .name:           _Z17shuffle_up_kernelILj32E16custom_16alignedEvPT0_j
    .private_segment_fixed_size: 0
    .sgpr_count:     11
    .sgpr_spill_count: 0
    .symbol:         _Z17shuffle_up_kernelILj32E16custom_16alignedEvPT0_j.kd
    .uniform_work_group_size: 1
    .uses_dynamic_stack: false
    .vgpr_count:     8
    .vgpr_spill_count: 0
    .wavefront_size: 64
  - .agpr_count:     0
    .args:
      - .address_space:  global
        .offset:         0
        .size:           8
        .value_kind:     global_buffer
      - .offset:         8
        .size:           4
        .value_kind:     by_value
      - .offset:         16
        .size:           4
        .value_kind:     hidden_block_count_x
      - .offset:         20
        .size:           4
        .value_kind:     hidden_block_count_y
      - .offset:         24
        .size:           4
        .value_kind:     hidden_block_count_z
      - .offset:         28
        .size:           2
        .value_kind:     hidden_group_size_x
      - .offset:         30
        .size:           2
        .value_kind:     hidden_group_size_y
      - .offset:         32
        .size:           2
        .value_kind:     hidden_group_size_z
      - .offset:         34
        .size:           2
        .value_kind:     hidden_remainder_x
      - .offset:         36
        .size:           2
        .value_kind:     hidden_remainder_y
      - .offset:         38
        .size:           2
        .value_kind:     hidden_remainder_z
      - .offset:         56
        .size:           8
        .value_kind:     hidden_global_offset_x
      - .offset:         64
        .size:           8
        .value_kind:     hidden_global_offset_y
      - .offset:         72
        .size:           8
        .value_kind:     hidden_global_offset_z
      - .offset:         80
        .size:           2
        .value_kind:     hidden_grid_dims
    .group_segment_fixed_size: 0
    .kernarg_segment_align: 8
    .kernarg_segment_size: 272
    .language:       OpenCL C
    .language_version:
      - 2
      - 0
    .max_flat_workgroup_size: 1024
    .name:           _Z17shuffle_up_kernelILj64E16custom_16alignedEvPT0_j
    .private_segment_fixed_size: 0
    .sgpr_count:     11
    .sgpr_spill_count: 0
    .symbol:         _Z17shuffle_up_kernelILj64E16custom_16alignedEvPT0_j.kd
    .uniform_work_group_size: 1
    .uses_dynamic_stack: false
    .vgpr_count:     8
    .vgpr_spill_count: 0
    .wavefront_size: 64
  - .agpr_count:     0
    .args:
      - .address_space:  global
        .offset:         0
        .size:           8
        .value_kind:     global_buffer
    .group_segment_fixed_size: 0
    .kernarg_segment_align: 8
    .kernarg_segment_size: 8
    .language:       OpenCL C
    .language_version:
      - 2
      - 0
    .max_flat_workgroup_size: 1024
    .name:           _Z21device_test_warp_maskILj1EEvP10TestStatus
    .private_segment_fixed_size: 0
    .sgpr_count:     22
    .sgpr_spill_count: 0
    .symbol:         _Z21device_test_warp_maskILj1EEvP10TestStatus.kd
    .uniform_work_group_size: 1
    .uses_dynamic_stack: false
    .vgpr_count:     8
    .vgpr_spill_count: 0
    .wavefront_size: 64
  - .agpr_count:     0
    .args:
      - .address_space:  global
        .offset:         0
        .size:           8
        .value_kind:     global_buffer
    .group_segment_fixed_size: 0
    .kernarg_segment_align: 8
    .kernarg_segment_size: 8
    .language:       OpenCL C
    .language_version:
      - 2
      - 0
    .max_flat_workgroup_size: 1024
    .name:           _Z21device_test_warp_maskILj2EEvP10TestStatus
    .private_segment_fixed_size: 0
    .sgpr_count:     22
    .sgpr_spill_count: 0
    .symbol:         _Z21device_test_warp_maskILj2EEvP10TestStatus.kd
    .uniform_work_group_size: 1
    .uses_dynamic_stack: false
    .vgpr_count:     10
    .vgpr_spill_count: 0
    .wavefront_size: 64
  - .agpr_count:     0
    .args:
      - .address_space:  global
        .offset:         0
        .size:           8
        .value_kind:     global_buffer
    .group_segment_fixed_size: 0
    .kernarg_segment_align: 8
    .kernarg_segment_size: 8
    .language:       OpenCL C
    .language_version:
      - 2
      - 0
    .max_flat_workgroup_size: 1024
    .name:           _Z21device_test_warp_maskILj3EEvP10TestStatus
    .private_segment_fixed_size: 0
    .sgpr_count:     44
    .sgpr_spill_count: 0
    .symbol:         _Z21device_test_warp_maskILj3EEvP10TestStatus.kd
    .uniform_work_group_size: 1
    .uses_dynamic_stack: false
    .vgpr_count:     2
    .vgpr_spill_count: 0
    .wavefront_size: 64
  - .agpr_count:     0
    .args:
      - .address_space:  global
        .offset:         0
        .size:           8
        .value_kind:     global_buffer
    .group_segment_fixed_size: 0
    .kernarg_segment_align: 8
    .kernarg_segment_size: 8
    .language:       OpenCL C
    .language_version:
      - 2
      - 0
    .max_flat_workgroup_size: 1024
    .name:           _Z21device_test_warp_maskILj4EEvP10TestStatus
    .private_segment_fixed_size: 0
    .sgpr_count:     22
    .sgpr_spill_count: 0
    .symbol:         _Z21device_test_warp_maskILj4EEvP10TestStatus.kd
    .uniform_work_group_size: 1
    .uses_dynamic_stack: false
    .vgpr_count:     10
    .vgpr_spill_count: 0
    .wavefront_size: 64
  - .agpr_count:     0
    .args:
      - .address_space:  global
        .offset:         0
        .size:           8
        .value_kind:     global_buffer
    .group_segment_fixed_size: 0
    .kernarg_segment_align: 8
    .kernarg_segment_size: 8
    .language:       OpenCL C
    .language_version:
      - 2
      - 0
    .max_flat_workgroup_size: 1024
    .name:           _Z21device_test_warp_maskILj5EEvP10TestStatus
    .private_segment_fixed_size: 0
    .sgpr_count:     44
    .sgpr_spill_count: 0
    .symbol:         _Z21device_test_warp_maskILj5EEvP10TestStatus.kd
    .uniform_work_group_size: 1
    .uses_dynamic_stack: false
    .vgpr_count:     2
    .vgpr_spill_count: 0
    .wavefront_size: 64
  - .agpr_count:     0
    .args:
      - .address_space:  global
        .offset:         0
        .size:           8
        .value_kind:     global_buffer
    .group_segment_fixed_size: 0
    .kernarg_segment_align: 8
    .kernarg_segment_size: 8
    .language:       OpenCL C
    .language_version:
      - 2
      - 0
    .max_flat_workgroup_size: 1024
    .name:           _Z21device_test_warp_maskILj6EEvP10TestStatus
    .private_segment_fixed_size: 0
    .sgpr_count:     18
    .sgpr_spill_count: 0
    .symbol:         _Z21device_test_warp_maskILj6EEvP10TestStatus.kd
    .uniform_work_group_size: 1
    .uses_dynamic_stack: false
    .vgpr_count:     2
    .vgpr_spill_count: 0
    .wavefront_size: 64
  - .agpr_count:     0
    .args:
      - .address_space:  global
        .offset:         0
        .size:           8
        .value_kind:     global_buffer
    .group_segment_fixed_size: 0
    .kernarg_segment_align: 8
    .kernarg_segment_size: 8
    .language:       OpenCL C
    .language_version:
      - 2
      - 0
    .max_flat_workgroup_size: 1024
    .name:           _Z21device_test_warp_maskILj7EEvP10TestStatus
    .private_segment_fixed_size: 0
    .sgpr_count:     25
    .sgpr_spill_count: 0
    .symbol:         _Z21device_test_warp_maskILj7EEvP10TestStatus.kd
    .uniform_work_group_size: 1
    .uses_dynamic_stack: false
    .vgpr_count:     2
    .vgpr_spill_count: 0
    .wavefront_size: 64
  - .agpr_count:     0
    .args:
      - .address_space:  global
        .offset:         0
        .size:           8
        .value_kind:     global_buffer
    .group_segment_fixed_size: 0
    .kernarg_segment_align: 8
    .kernarg_segment_size: 8
    .language:       OpenCL C
    .language_version:
      - 2
      - 0
    .max_flat_workgroup_size: 1024
    .name:           _Z21device_test_warp_maskILj8EEvP10TestStatus
    .private_segment_fixed_size: 0
    .sgpr_count:     24
    .sgpr_spill_count: 0
    .symbol:         _Z21device_test_warp_maskILj8EEvP10TestStatus.kd
    .uniform_work_group_size: 1
    .uses_dynamic_stack: false
    .vgpr_count:     10
    .vgpr_spill_count: 0
    .wavefront_size: 64
  - .agpr_count:     0
    .args:
      - .address_space:  global
        .offset:         0
        .size:           8
        .value_kind:     global_buffer
    .group_segment_fixed_size: 0
    .kernarg_segment_align: 8
    .kernarg_segment_size: 8
    .language:       OpenCL C
    .language_version:
      - 2
      - 0
    .max_flat_workgroup_size: 1024
    .name:           _Z21device_test_warp_maskILj9EEvP10TestStatus
    .private_segment_fixed_size: 0
    .sgpr_count:     58
    .sgpr_spill_count: 0
    .symbol:         _Z21device_test_warp_maskILj9EEvP10TestStatus.kd
    .uniform_work_group_size: 1
    .uses_dynamic_stack: false
    .vgpr_count:     2
    .vgpr_spill_count: 0
    .wavefront_size: 64
  - .agpr_count:     0
    .args:
      - .address_space:  global
        .offset:         0
        .size:           8
        .value_kind:     global_buffer
    .group_segment_fixed_size: 0
    .kernarg_segment_align: 8
    .kernarg_segment_size: 8
    .language:       OpenCL C
    .language_version:
      - 2
      - 0
    .max_flat_workgroup_size: 1024
    .name:           _Z21device_test_warp_maskILj10EEvP10TestStatus
    .private_segment_fixed_size: 0
    .sgpr_count:     50
    .sgpr_spill_count: 0
    .symbol:         _Z21device_test_warp_maskILj10EEvP10TestStatus.kd
    .uniform_work_group_size: 1
    .uses_dynamic_stack: false
    .vgpr_count:     2
    .vgpr_spill_count: 0
    .wavefront_size: 64
  - .agpr_count:     0
    .args:
      - .address_space:  global
        .offset:         0
        .size:           8
        .value_kind:     global_buffer
    .group_segment_fixed_size: 0
    .kernarg_segment_align: 8
    .kernarg_segment_size: 8
    .language:       OpenCL C
    .language_version:
      - 2
      - 0
    .max_flat_workgroup_size: 1024
    .name:           _Z21device_test_warp_maskILj11EEvP10TestStatus
    .private_segment_fixed_size: 0
    .sgpr_count:     44
    .sgpr_spill_count: 0
    .symbol:         _Z21device_test_warp_maskILj11EEvP10TestStatus.kd
    .uniform_work_group_size: 1
    .uses_dynamic_stack: false
    .vgpr_count:     2
    .vgpr_spill_count: 0
    .wavefront_size: 64
  - .agpr_count:     0
    .args:
      - .address_space:  global
        .offset:         0
        .size:           8
        .value_kind:     global_buffer
    .group_segment_fixed_size: 0
    .kernarg_segment_align: 8
    .kernarg_segment_size: 8
    .language:       OpenCL C
    .language_version:
      - 2
      - 0
    .max_flat_workgroup_size: 1024
    .name:           _Z21device_test_warp_maskILj12EEvP10TestStatus
    .private_segment_fixed_size: 0
    .sgpr_count:     66
    .sgpr_spill_count: 0
    .symbol:         _Z21device_test_warp_maskILj12EEvP10TestStatus.kd
    .uniform_work_group_size: 1
    .uses_dynamic_stack: false
    .vgpr_count:     2
    .vgpr_spill_count: 0
    .wavefront_size: 64
  - .agpr_count:     0
    .args:
      - .address_space:  global
        .offset:         0
        .size:           8
        .value_kind:     global_buffer
    .group_segment_fixed_size: 0
    .kernarg_segment_align: 8
    .kernarg_segment_size: 8
    .language:       OpenCL C
    .language_version:
      - 2
      - 0
    .max_flat_workgroup_size: 1024
    .name:           _Z21device_test_warp_maskILj13EEvP10TestStatus
    .private_segment_fixed_size: 0
    .sgpr_count:     25
    .sgpr_spill_count: 0
    .symbol:         _Z21device_test_warp_maskILj13EEvP10TestStatus.kd
    .uniform_work_group_size: 1
    .uses_dynamic_stack: false
    .vgpr_count:     2
    .vgpr_spill_count: 0
    .wavefront_size: 64
  - .agpr_count:     0
    .args:
      - .address_space:  global
        .offset:         0
        .size:           8
        .value_kind:     global_buffer
    .group_segment_fixed_size: 0
    .kernarg_segment_align: 8
    .kernarg_segment_size: 8
    .language:       OpenCL C
    .language_version:
      - 2
      - 0
    .max_flat_workgroup_size: 1024
    .name:           _Z21device_test_warp_maskILj14EEvP10TestStatus
    .private_segment_fixed_size: 0
    .sgpr_count:     53
    .sgpr_spill_count: 0
    .symbol:         _Z21device_test_warp_maskILj14EEvP10TestStatus.kd
    .uniform_work_group_size: 1
    .uses_dynamic_stack: false
    .vgpr_count:     2
    .vgpr_spill_count: 0
    .wavefront_size: 64
  - .agpr_count:     0
    .args:
      - .address_space:  global
        .offset:         0
        .size:           8
        .value_kind:     global_buffer
    .group_segment_fixed_size: 0
    .kernarg_segment_align: 8
    .kernarg_segment_size: 8
    .language:       OpenCL C
    .language_version:
      - 2
      - 0
    .max_flat_workgroup_size: 1024
    .name:           _Z21device_test_warp_maskILj15EEvP10TestStatus
    .private_segment_fixed_size: 0
    .sgpr_count:     42
    .sgpr_spill_count: 0
    .symbol:         _Z21device_test_warp_maskILj15EEvP10TestStatus.kd
    .uniform_work_group_size: 1
    .uses_dynamic_stack: false
    .vgpr_count:     2
    .vgpr_spill_count: 0
    .wavefront_size: 64
  - .agpr_count:     0
    .args:
      - .address_space:  global
        .offset:         0
        .size:           8
        .value_kind:     global_buffer
    .group_segment_fixed_size: 0
    .kernarg_segment_align: 8
    .kernarg_segment_size: 8
    .language:       OpenCL C
    .language_version:
      - 2
      - 0
    .max_flat_workgroup_size: 1024
    .name:           _Z21device_test_warp_maskILj16EEvP10TestStatus
    .private_segment_fixed_size: 0
    .sgpr_count:     42
    .sgpr_spill_count: 0
    .symbol:         _Z21device_test_warp_maskILj16EEvP10TestStatus.kd
    .uniform_work_group_size: 1
    .uses_dynamic_stack: false
    .vgpr_count:     10
    .vgpr_spill_count: 0
    .wavefront_size: 64
  - .agpr_count:     0
    .args:
      - .address_space:  global
        .offset:         0
        .size:           8
        .value_kind:     global_buffer
    .group_segment_fixed_size: 0
    .kernarg_segment_align: 8
    .kernarg_segment_size: 8
    .language:       OpenCL C
    .language_version:
      - 2
      - 0
    .max_flat_workgroup_size: 1024
    .name:           _Z21device_test_warp_maskILj17EEvP10TestStatus
    .private_segment_fixed_size: 0
    .sgpr_count:     44
    .sgpr_spill_count: 0
    .symbol:         _Z21device_test_warp_maskILj17EEvP10TestStatus.kd
    .uniform_work_group_size: 1
    .uses_dynamic_stack: false
    .vgpr_count:     2
    .vgpr_spill_count: 0
    .wavefront_size: 64
  - .agpr_count:     0
    .args:
      - .address_space:  global
        .offset:         0
        .size:           8
        .value_kind:     global_buffer
    .group_segment_fixed_size: 0
    .kernarg_segment_align: 8
    .kernarg_segment_size: 8
    .language:       OpenCL C
    .language_version:
      - 2
      - 0
    .max_flat_workgroup_size: 1024
    .name:           _Z21device_test_warp_maskILj18EEvP10TestStatus
    .private_segment_fixed_size: 0
    .sgpr_count:     18
    .sgpr_spill_count: 0
    .symbol:         _Z21device_test_warp_maskILj18EEvP10TestStatus.kd
    .uniform_work_group_size: 1
    .uses_dynamic_stack: false
    .vgpr_count:     2
    .vgpr_spill_count: 0
    .wavefront_size: 64
  - .agpr_count:     0
    .args:
      - .address_space:  global
        .offset:         0
        .size:           8
        .value_kind:     global_buffer
    .group_segment_fixed_size: 0
    .kernarg_segment_align: 8
    .kernarg_segment_size: 8
    .language:       OpenCL C
    .language_version:
      - 2
      - 0
    .max_flat_workgroup_size: 1024
    .name:           _Z21device_test_warp_maskILj19EEvP10TestStatus
    .private_segment_fixed_size: 0
    .sgpr_count:     50
    .sgpr_spill_count: 0
    .symbol:         _Z21device_test_warp_maskILj19EEvP10TestStatus.kd
    .uniform_work_group_size: 1
    .uses_dynamic_stack: false
    .vgpr_count:     2
    .vgpr_spill_count: 0
    .wavefront_size: 64
  - .agpr_count:     0
    .args:
      - .address_space:  global
        .offset:         0
        .size:           8
        .value_kind:     global_buffer
    .group_segment_fixed_size: 0
    .kernarg_segment_align: 8
    .kernarg_segment_size: 8
    .language:       OpenCL C
    .language_version:
      - 2
      - 0
    .max_flat_workgroup_size: 1024
    .name:           _Z21device_test_warp_maskILj20EEvP10TestStatus
    .private_segment_fixed_size: 0
    .sgpr_count:     58
    .sgpr_spill_count: 0
    .symbol:         _Z21device_test_warp_maskILj20EEvP10TestStatus.kd
    .uniform_work_group_size: 1
    .uses_dynamic_stack: false
    .vgpr_count:     2
    .vgpr_spill_count: 0
    .wavefront_size: 64
  - .agpr_count:     0
    .args:
      - .address_space:  global
        .offset:         0
        .size:           8
        .value_kind:     global_buffer
    .group_segment_fixed_size: 0
    .kernarg_segment_align: 8
    .kernarg_segment_size: 8
    .language:       OpenCL C
    .language_version:
      - 2
      - 0
    .max_flat_workgroup_size: 1024
    .name:           _Z21device_test_warp_maskILj21EEvP10TestStatus
    .private_segment_fixed_size: 0
    .sgpr_count:     44
    .sgpr_spill_count: 0
    .symbol:         _Z21device_test_warp_maskILj21EEvP10TestStatus.kd
    .uniform_work_group_size: 1
    .uses_dynamic_stack: false
    .vgpr_count:     2
    .vgpr_spill_count: 0
    .wavefront_size: 64
  - .agpr_count:     0
    .args:
      - .address_space:  global
        .offset:         0
        .size:           8
        .value_kind:     global_buffer
    .group_segment_fixed_size: 0
    .kernarg_segment_align: 8
    .kernarg_segment_size: 8
    .language:       OpenCL C
    .language_version:
      - 2
      - 0
    .max_flat_workgroup_size: 1024
    .name:           _Z21device_test_warp_maskILj22EEvP10TestStatus
    .private_segment_fixed_size: 0
    .sgpr_count:     42
    .sgpr_spill_count: 0
    .symbol:         _Z21device_test_warp_maskILj22EEvP10TestStatus.kd
    .uniform_work_group_size: 1
    .uses_dynamic_stack: false
    .vgpr_count:     2
    .vgpr_spill_count: 0
    .wavefront_size: 64
  - .agpr_count:     0
    .args:
      - .address_space:  global
        .offset:         0
        .size:           8
        .value_kind:     global_buffer
    .group_segment_fixed_size: 0
    .kernarg_segment_align: 8
    .kernarg_segment_size: 8
    .language:       OpenCL C
    .language_version:
      - 2
      - 0
    .max_flat_workgroup_size: 1024
    .name:           _Z21device_test_warp_maskILj23EEvP10TestStatus
    .private_segment_fixed_size: 0
    .sgpr_count:     44
    .sgpr_spill_count: 0
    .symbol:         _Z21device_test_warp_maskILj23EEvP10TestStatus.kd
    .uniform_work_group_size: 1
    .uses_dynamic_stack: false
    .vgpr_count:     2
    .vgpr_spill_count: 0
    .wavefront_size: 64
  - .agpr_count:     0
    .args:
      - .address_space:  global
        .offset:         0
        .size:           8
        .value_kind:     global_buffer
    .group_segment_fixed_size: 0
    .kernarg_segment_align: 8
    .kernarg_segment_size: 8
    .language:       OpenCL C
    .language_version:
      - 2
      - 0
    .max_flat_workgroup_size: 1024
    .name:           _Z21device_test_warp_maskILj24EEvP10TestStatus
    .private_segment_fixed_size: 0
    .sgpr_count:     53
    .sgpr_spill_count: 0
    .symbol:         _Z21device_test_warp_maskILj24EEvP10TestStatus.kd
    .uniform_work_group_size: 1
    .uses_dynamic_stack: false
    .vgpr_count:     2
    .vgpr_spill_count: 0
    .wavefront_size: 64
  - .agpr_count:     0
    .args:
      - .address_space:  global
        .offset:         0
        .size:           8
        .value_kind:     global_buffer
    .group_segment_fixed_size: 0
    .kernarg_segment_align: 8
    .kernarg_segment_size: 8
    .language:       OpenCL C
    .language_version:
      - 2
      - 0
    .max_flat_workgroup_size: 1024
    .name:           _Z21device_test_warp_maskILj25EEvP10TestStatus
    .private_segment_fixed_size: 0
    .sgpr_count:     66
    .sgpr_spill_count: 0
    .symbol:         _Z21device_test_warp_maskILj25EEvP10TestStatus.kd
    .uniform_work_group_size: 1
    .uses_dynamic_stack: false
    .vgpr_count:     2
    .vgpr_spill_count: 0
    .wavefront_size: 64
  - .agpr_count:     0
    .args:
      - .address_space:  global
        .offset:         0
        .size:           8
        .value_kind:     global_buffer
    .group_segment_fixed_size: 0
    .kernarg_segment_align: 8
    .kernarg_segment_size: 8
    .language:       OpenCL C
    .language_version:
      - 2
      - 0
    .max_flat_workgroup_size: 1024
    .name:           _Z21device_test_warp_maskILj26EEvP10TestStatus
    .private_segment_fixed_size: 0
    .sgpr_count:     18
    .sgpr_spill_count: 0
    .symbol:         _Z21device_test_warp_maskILj26EEvP10TestStatus.kd
    .uniform_work_group_size: 1
    .uses_dynamic_stack: false
    .vgpr_count:     2
    .vgpr_spill_count: 0
    .wavefront_size: 64
  - .agpr_count:     0
    .args:
      - .address_space:  global
        .offset:         0
        .size:           8
        .value_kind:     global_buffer
    .group_segment_fixed_size: 0
    .kernarg_segment_align: 8
    .kernarg_segment_size: 8
    .language:       OpenCL C
    .language_version:
      - 2
      - 0
    .max_flat_workgroup_size: 1024
    .name:           _Z21device_test_warp_maskILj27EEvP10TestStatus
    .private_segment_fixed_size: 0
    .sgpr_count:     44
    .sgpr_spill_count: 0
    .symbol:         _Z21device_test_warp_maskILj27EEvP10TestStatus.kd
    .uniform_work_group_size: 1
    .uses_dynamic_stack: false
    .vgpr_count:     2
    .vgpr_spill_count: 0
    .wavefront_size: 64
  - .agpr_count:     0
    .args:
      - .address_space:  global
        .offset:         0
        .size:           8
        .value_kind:     global_buffer
    .group_segment_fixed_size: 0
    .kernarg_segment_align: 8
    .kernarg_segment_size: 8
    .language:       OpenCL C
    .language_version:
      - 2
      - 0
    .max_flat_workgroup_size: 1024
    .name:           _Z21device_test_warp_maskILj28EEvP10TestStatus
    .private_segment_fixed_size: 0
    .sgpr_count:     61
    .sgpr_spill_count: 0
    .symbol:         _Z21device_test_warp_maskILj28EEvP10TestStatus.kd
    .uniform_work_group_size: 1
    .uses_dynamic_stack: false
    .vgpr_count:     2
    .vgpr_spill_count: 0
    .wavefront_size: 64
  - .agpr_count:     0
    .args:
      - .address_space:  global
        .offset:         0
        .size:           8
        .value_kind:     global_buffer
    .group_segment_fixed_size: 0
    .kernarg_segment_align: 8
    .kernarg_segment_size: 8
    .language:       OpenCL C
    .language_version:
      - 2
      - 0
    .max_flat_workgroup_size: 1024
    .name:           _Z21device_test_warp_maskILj29EEvP10TestStatus
    .private_segment_fixed_size: 0
    .sgpr_count:     42
    .sgpr_spill_count: 0
    .symbol:         _Z21device_test_warp_maskILj29EEvP10TestStatus.kd
    .uniform_work_group_size: 1
    .uses_dynamic_stack: false
    .vgpr_count:     2
    .vgpr_spill_count: 0
    .wavefront_size: 64
  - .agpr_count:     0
    .args:
      - .address_space:  global
        .offset:         0
        .size:           8
        .value_kind:     global_buffer
    .group_segment_fixed_size: 0
    .kernarg_segment_align: 8
    .kernarg_segment_size: 8
    .language:       OpenCL C
    .language_version:
      - 2
      - 0
    .max_flat_workgroup_size: 1024
    .name:           _Z21device_test_warp_maskILj30EEvP10TestStatus
    .private_segment_fixed_size: 0
    .sgpr_count:     18
    .sgpr_spill_count: 0
    .symbol:         _Z21device_test_warp_maskILj30EEvP10TestStatus.kd
    .uniform_work_group_size: 1
    .uses_dynamic_stack: false
    .vgpr_count:     2
    .vgpr_spill_count: 0
    .wavefront_size: 64
  - .agpr_count:     0
    .args:
      - .address_space:  global
        .offset:         0
        .size:           8
        .value_kind:     global_buffer
    .group_segment_fixed_size: 0
    .kernarg_segment_align: 8
    .kernarg_segment_size: 8
    .language:       OpenCL C
    .language_version:
      - 2
      - 0
    .max_flat_workgroup_size: 1024
    .name:           _Z21device_test_warp_maskILj31EEvP10TestStatus
    .private_segment_fixed_size: 0
    .sgpr_count:     58
    .sgpr_spill_count: 0
    .symbol:         _Z21device_test_warp_maskILj31EEvP10TestStatus.kd
    .uniform_work_group_size: 1
    .uses_dynamic_stack: false
    .vgpr_count:     2
    .vgpr_spill_count: 0
    .wavefront_size: 64
  - .agpr_count:     0
    .args:
      - .address_space:  global
        .offset:         0
        .size:           8
        .value_kind:     global_buffer
    .group_segment_fixed_size: 0
    .kernarg_segment_align: 8
    .kernarg_segment_size: 8
    .language:       OpenCL C
    .language_version:
      - 2
      - 0
    .max_flat_workgroup_size: 1024
    .name:           _Z21device_test_warp_maskILj32EEvP10TestStatus
    .private_segment_fixed_size: 0
    .sgpr_count:     42
    .sgpr_spill_count: 0
    .symbol:         _Z21device_test_warp_maskILj32EEvP10TestStatus.kd
    .uniform_work_group_size: 1
    .uses_dynamic_stack: false
    .vgpr_count:     10
    .vgpr_spill_count: 0
    .wavefront_size: 64
  - .agpr_count:     0
    .args:
      - .address_space:  global
        .offset:         0
        .size:           8
        .value_kind:     global_buffer
    .group_segment_fixed_size: 0
    .kernarg_segment_align: 8
    .kernarg_segment_size: 8
    .language:       OpenCL C
    .language_version:
      - 2
      - 0
    .max_flat_workgroup_size: 1024
    .name:           _Z21device_test_warp_maskILj33EEvP10TestStatus
    .private_segment_fixed_size: 0
    .sgpr_count:     10
    .sgpr_spill_count: 0
    .symbol:         _Z21device_test_warp_maskILj33EEvP10TestStatus.kd
    .uniform_work_group_size: 1
    .uses_dynamic_stack: false
    .vgpr_count:     2
    .vgpr_spill_count: 0
    .wavefront_size: 64
  - .agpr_count:     0
    .args:
      - .address_space:  global
        .offset:         0
        .size:           8
        .value_kind:     global_buffer
    .group_segment_fixed_size: 0
    .kernarg_segment_align: 8
    .kernarg_segment_size: 8
    .language:       OpenCL C
    .language_version:
      - 2
      - 0
    .max_flat_workgroup_size: 1024
    .name:           _Z21device_test_warp_maskILj34EEvP10TestStatus
    .private_segment_fixed_size: 0
    .sgpr_count:     10
    .sgpr_spill_count: 0
    .symbol:         _Z21device_test_warp_maskILj34EEvP10TestStatus.kd
    .uniform_work_group_size: 1
    .uses_dynamic_stack: false
    .vgpr_count:     2
    .vgpr_spill_count: 0
    .wavefront_size: 64
  - .agpr_count:     0
    .args:
      - .address_space:  global
        .offset:         0
        .size:           8
        .value_kind:     global_buffer
    .group_segment_fixed_size: 0
    .kernarg_segment_align: 8
    .kernarg_segment_size: 8
    .language:       OpenCL C
    .language_version:
      - 2
      - 0
    .max_flat_workgroup_size: 1024
    .name:           _Z21device_test_warp_maskILj35EEvP10TestStatus
    .private_segment_fixed_size: 0
    .sgpr_count:     10
    .sgpr_spill_count: 0
    .symbol:         _Z21device_test_warp_maskILj35EEvP10TestStatus.kd
    .uniform_work_group_size: 1
    .uses_dynamic_stack: false
    .vgpr_count:     2
    .vgpr_spill_count: 0
    .wavefront_size: 64
  - .agpr_count:     0
    .args:
      - .address_space:  global
        .offset:         0
        .size:           8
        .value_kind:     global_buffer
    .group_segment_fixed_size: 0
    .kernarg_segment_align: 8
    .kernarg_segment_size: 8
    .language:       OpenCL C
    .language_version:
      - 2
      - 0
    .max_flat_workgroup_size: 1024
    .name:           _Z21device_test_warp_maskILj36EEvP10TestStatus
    .private_segment_fixed_size: 0
    .sgpr_count:     10
    .sgpr_spill_count: 0
    .symbol:         _Z21device_test_warp_maskILj36EEvP10TestStatus.kd
    .uniform_work_group_size: 1
    .uses_dynamic_stack: false
    .vgpr_count:     2
    .vgpr_spill_count: 0
    .wavefront_size: 64
  - .agpr_count:     0
    .args:
      - .address_space:  global
        .offset:         0
        .size:           8
        .value_kind:     global_buffer
    .group_segment_fixed_size: 0
    .kernarg_segment_align: 8
    .kernarg_segment_size: 8
    .language:       OpenCL C
    .language_version:
      - 2
      - 0
    .max_flat_workgroup_size: 1024
    .name:           _Z21device_test_warp_maskILj37EEvP10TestStatus
    .private_segment_fixed_size: 0
    .sgpr_count:     10
    .sgpr_spill_count: 0
    .symbol:         _Z21device_test_warp_maskILj37EEvP10TestStatus.kd
    .uniform_work_group_size: 1
    .uses_dynamic_stack: false
    .vgpr_count:     2
    .vgpr_spill_count: 0
    .wavefront_size: 64
  - .agpr_count:     0
    .args:
      - .address_space:  global
        .offset:         0
        .size:           8
        .value_kind:     global_buffer
    .group_segment_fixed_size: 0
    .kernarg_segment_align: 8
    .kernarg_segment_size: 8
    .language:       OpenCL C
    .language_version:
      - 2
      - 0
    .max_flat_workgroup_size: 1024
    .name:           _Z21device_test_warp_maskILj38EEvP10TestStatus
    .private_segment_fixed_size: 0
    .sgpr_count:     10
    .sgpr_spill_count: 0
    .symbol:         _Z21device_test_warp_maskILj38EEvP10TestStatus.kd
    .uniform_work_group_size: 1
    .uses_dynamic_stack: false
    .vgpr_count:     2
    .vgpr_spill_count: 0
    .wavefront_size: 64
  - .agpr_count:     0
    .args:
      - .address_space:  global
        .offset:         0
        .size:           8
        .value_kind:     global_buffer
    .group_segment_fixed_size: 0
    .kernarg_segment_align: 8
    .kernarg_segment_size: 8
    .language:       OpenCL C
    .language_version:
      - 2
      - 0
    .max_flat_workgroup_size: 1024
    .name:           _Z21device_test_warp_maskILj39EEvP10TestStatus
    .private_segment_fixed_size: 0
    .sgpr_count:     10
    .sgpr_spill_count: 0
    .symbol:         _Z21device_test_warp_maskILj39EEvP10TestStatus.kd
    .uniform_work_group_size: 1
    .uses_dynamic_stack: false
    .vgpr_count:     2
    .vgpr_spill_count: 0
    .wavefront_size: 64
  - .agpr_count:     0
    .args:
      - .address_space:  global
        .offset:         0
        .size:           8
        .value_kind:     global_buffer
    .group_segment_fixed_size: 0
    .kernarg_segment_align: 8
    .kernarg_segment_size: 8
    .language:       OpenCL C
    .language_version:
      - 2
      - 0
    .max_flat_workgroup_size: 1024
    .name:           _Z21device_test_warp_maskILj40EEvP10TestStatus
    .private_segment_fixed_size: 0
    .sgpr_count:     10
    .sgpr_spill_count: 0
    .symbol:         _Z21device_test_warp_maskILj40EEvP10TestStatus.kd
    .uniform_work_group_size: 1
    .uses_dynamic_stack: false
    .vgpr_count:     2
    .vgpr_spill_count: 0
    .wavefront_size: 64
  - .agpr_count:     0
    .args:
      - .address_space:  global
        .offset:         0
        .size:           8
        .value_kind:     global_buffer
    .group_segment_fixed_size: 0
    .kernarg_segment_align: 8
    .kernarg_segment_size: 8
    .language:       OpenCL C
    .language_version:
      - 2
      - 0
    .max_flat_workgroup_size: 1024
    .name:           _Z21device_test_warp_maskILj41EEvP10TestStatus
    .private_segment_fixed_size: 0
    .sgpr_count:     10
    .sgpr_spill_count: 0
    .symbol:         _Z21device_test_warp_maskILj41EEvP10TestStatus.kd
    .uniform_work_group_size: 1
    .uses_dynamic_stack: false
    .vgpr_count:     2
    .vgpr_spill_count: 0
    .wavefront_size: 64
  - .agpr_count:     0
    .args:
      - .address_space:  global
        .offset:         0
        .size:           8
        .value_kind:     global_buffer
    .group_segment_fixed_size: 0
    .kernarg_segment_align: 8
    .kernarg_segment_size: 8
    .language:       OpenCL C
    .language_version:
      - 2
      - 0
    .max_flat_workgroup_size: 1024
    .name:           _Z21device_test_warp_maskILj42EEvP10TestStatus
    .private_segment_fixed_size: 0
    .sgpr_count:     10
    .sgpr_spill_count: 0
    .symbol:         _Z21device_test_warp_maskILj42EEvP10TestStatus.kd
    .uniform_work_group_size: 1
    .uses_dynamic_stack: false
    .vgpr_count:     2
    .vgpr_spill_count: 0
    .wavefront_size: 64
  - .agpr_count:     0
    .args:
      - .address_space:  global
        .offset:         0
        .size:           8
        .value_kind:     global_buffer
    .group_segment_fixed_size: 0
    .kernarg_segment_align: 8
    .kernarg_segment_size: 8
    .language:       OpenCL C
    .language_version:
      - 2
      - 0
    .max_flat_workgroup_size: 1024
    .name:           _Z21device_test_warp_maskILj43EEvP10TestStatus
    .private_segment_fixed_size: 0
    .sgpr_count:     10
    .sgpr_spill_count: 0
    .symbol:         _Z21device_test_warp_maskILj43EEvP10TestStatus.kd
    .uniform_work_group_size: 1
    .uses_dynamic_stack: false
    .vgpr_count:     2
    .vgpr_spill_count: 0
    .wavefront_size: 64
  - .agpr_count:     0
    .args:
      - .address_space:  global
        .offset:         0
        .size:           8
        .value_kind:     global_buffer
    .group_segment_fixed_size: 0
    .kernarg_segment_align: 8
    .kernarg_segment_size: 8
    .language:       OpenCL C
    .language_version:
      - 2
      - 0
    .max_flat_workgroup_size: 1024
    .name:           _Z21device_test_warp_maskILj44EEvP10TestStatus
    .private_segment_fixed_size: 0
    .sgpr_count:     10
    .sgpr_spill_count: 0
    .symbol:         _Z21device_test_warp_maskILj44EEvP10TestStatus.kd
    .uniform_work_group_size: 1
    .uses_dynamic_stack: false
    .vgpr_count:     2
    .vgpr_spill_count: 0
    .wavefront_size: 64
  - .agpr_count:     0
    .args:
      - .address_space:  global
        .offset:         0
        .size:           8
        .value_kind:     global_buffer
    .group_segment_fixed_size: 0
    .kernarg_segment_align: 8
    .kernarg_segment_size: 8
    .language:       OpenCL C
    .language_version:
      - 2
      - 0
    .max_flat_workgroup_size: 1024
    .name:           _Z21device_test_warp_maskILj45EEvP10TestStatus
    .private_segment_fixed_size: 0
    .sgpr_count:     10
    .sgpr_spill_count: 0
    .symbol:         _Z21device_test_warp_maskILj45EEvP10TestStatus.kd
    .uniform_work_group_size: 1
    .uses_dynamic_stack: false
    .vgpr_count:     2
    .vgpr_spill_count: 0
    .wavefront_size: 64
  - .agpr_count:     0
    .args:
      - .address_space:  global
        .offset:         0
        .size:           8
        .value_kind:     global_buffer
    .group_segment_fixed_size: 0
    .kernarg_segment_align: 8
    .kernarg_segment_size: 8
    .language:       OpenCL C
    .language_version:
      - 2
      - 0
    .max_flat_workgroup_size: 1024
    .name:           _Z21device_test_warp_maskILj46EEvP10TestStatus
    .private_segment_fixed_size: 0
    .sgpr_count:     10
    .sgpr_spill_count: 0
    .symbol:         _Z21device_test_warp_maskILj46EEvP10TestStatus.kd
    .uniform_work_group_size: 1
    .uses_dynamic_stack: false
    .vgpr_count:     2
    .vgpr_spill_count: 0
    .wavefront_size: 64
  - .agpr_count:     0
    .args:
      - .address_space:  global
        .offset:         0
        .size:           8
        .value_kind:     global_buffer
    .group_segment_fixed_size: 0
    .kernarg_segment_align: 8
    .kernarg_segment_size: 8
    .language:       OpenCL C
    .language_version:
      - 2
      - 0
    .max_flat_workgroup_size: 1024
    .name:           _Z21device_test_warp_maskILj47EEvP10TestStatus
    .private_segment_fixed_size: 0
    .sgpr_count:     10
    .sgpr_spill_count: 0
    .symbol:         _Z21device_test_warp_maskILj47EEvP10TestStatus.kd
    .uniform_work_group_size: 1
    .uses_dynamic_stack: false
    .vgpr_count:     2
    .vgpr_spill_count: 0
    .wavefront_size: 64
  - .agpr_count:     0
    .args:
      - .address_space:  global
        .offset:         0
        .size:           8
        .value_kind:     global_buffer
    .group_segment_fixed_size: 0
    .kernarg_segment_align: 8
    .kernarg_segment_size: 8
    .language:       OpenCL C
    .language_version:
      - 2
      - 0
    .max_flat_workgroup_size: 1024
    .name:           _Z21device_test_warp_maskILj48EEvP10TestStatus
    .private_segment_fixed_size: 0
    .sgpr_count:     10
    .sgpr_spill_count: 0
    .symbol:         _Z21device_test_warp_maskILj48EEvP10TestStatus.kd
    .uniform_work_group_size: 1
    .uses_dynamic_stack: false
    .vgpr_count:     2
    .vgpr_spill_count: 0
    .wavefront_size: 64
  - .agpr_count:     0
    .args:
      - .address_space:  global
        .offset:         0
        .size:           8
        .value_kind:     global_buffer
    .group_segment_fixed_size: 0
    .kernarg_segment_align: 8
    .kernarg_segment_size: 8
    .language:       OpenCL C
    .language_version:
      - 2
      - 0
    .max_flat_workgroup_size: 1024
    .name:           _Z21device_test_warp_maskILj49EEvP10TestStatus
    .private_segment_fixed_size: 0
    .sgpr_count:     10
    .sgpr_spill_count: 0
    .symbol:         _Z21device_test_warp_maskILj49EEvP10TestStatus.kd
    .uniform_work_group_size: 1
    .uses_dynamic_stack: false
    .vgpr_count:     2
    .vgpr_spill_count: 0
    .wavefront_size: 64
  - .agpr_count:     0
    .args:
      - .address_space:  global
        .offset:         0
        .size:           8
        .value_kind:     global_buffer
    .group_segment_fixed_size: 0
    .kernarg_segment_align: 8
    .kernarg_segment_size: 8
    .language:       OpenCL C
    .language_version:
      - 2
      - 0
    .max_flat_workgroup_size: 1024
    .name:           _Z21device_test_warp_maskILj50EEvP10TestStatus
    .private_segment_fixed_size: 0
    .sgpr_count:     10
    .sgpr_spill_count: 0
    .symbol:         _Z21device_test_warp_maskILj50EEvP10TestStatus.kd
    .uniform_work_group_size: 1
    .uses_dynamic_stack: false
    .vgpr_count:     2
    .vgpr_spill_count: 0
    .wavefront_size: 64
  - .agpr_count:     0
    .args:
      - .address_space:  global
        .offset:         0
        .size:           8
        .value_kind:     global_buffer
    .group_segment_fixed_size: 0
    .kernarg_segment_align: 8
    .kernarg_segment_size: 8
    .language:       OpenCL C
    .language_version:
      - 2
      - 0
    .max_flat_workgroup_size: 1024
    .name:           _Z21device_test_warp_maskILj51EEvP10TestStatus
    .private_segment_fixed_size: 0
    .sgpr_count:     10
    .sgpr_spill_count: 0
    .symbol:         _Z21device_test_warp_maskILj51EEvP10TestStatus.kd
    .uniform_work_group_size: 1
    .uses_dynamic_stack: false
    .vgpr_count:     2
    .vgpr_spill_count: 0
    .wavefront_size: 64
  - .agpr_count:     0
    .args:
      - .address_space:  global
        .offset:         0
        .size:           8
        .value_kind:     global_buffer
    .group_segment_fixed_size: 0
    .kernarg_segment_align: 8
    .kernarg_segment_size: 8
    .language:       OpenCL C
    .language_version:
      - 2
      - 0
    .max_flat_workgroup_size: 1024
    .name:           _Z21device_test_warp_maskILj52EEvP10TestStatus
    .private_segment_fixed_size: 0
    .sgpr_count:     10
    .sgpr_spill_count: 0
    .symbol:         _Z21device_test_warp_maskILj52EEvP10TestStatus.kd
    .uniform_work_group_size: 1
    .uses_dynamic_stack: false
    .vgpr_count:     2
    .vgpr_spill_count: 0
    .wavefront_size: 64
  - .agpr_count:     0
    .args:
      - .address_space:  global
        .offset:         0
        .size:           8
        .value_kind:     global_buffer
    .group_segment_fixed_size: 0
    .kernarg_segment_align: 8
    .kernarg_segment_size: 8
    .language:       OpenCL C
    .language_version:
      - 2
      - 0
    .max_flat_workgroup_size: 1024
    .name:           _Z21device_test_warp_maskILj53EEvP10TestStatus
    .private_segment_fixed_size: 0
    .sgpr_count:     10
    .sgpr_spill_count: 0
    .symbol:         _Z21device_test_warp_maskILj53EEvP10TestStatus.kd
    .uniform_work_group_size: 1
    .uses_dynamic_stack: false
    .vgpr_count:     2
    .vgpr_spill_count: 0
    .wavefront_size: 64
  - .agpr_count:     0
    .args:
      - .address_space:  global
        .offset:         0
        .size:           8
        .value_kind:     global_buffer
    .group_segment_fixed_size: 0
    .kernarg_segment_align: 8
    .kernarg_segment_size: 8
    .language:       OpenCL C
    .language_version:
      - 2
      - 0
    .max_flat_workgroup_size: 1024
    .name:           _Z21device_test_warp_maskILj54EEvP10TestStatus
    .private_segment_fixed_size: 0
    .sgpr_count:     10
    .sgpr_spill_count: 0
    .symbol:         _Z21device_test_warp_maskILj54EEvP10TestStatus.kd
    .uniform_work_group_size: 1
    .uses_dynamic_stack: false
    .vgpr_count:     2
    .vgpr_spill_count: 0
    .wavefront_size: 64
  - .agpr_count:     0
    .args:
      - .address_space:  global
        .offset:         0
        .size:           8
        .value_kind:     global_buffer
    .group_segment_fixed_size: 0
    .kernarg_segment_align: 8
    .kernarg_segment_size: 8
    .language:       OpenCL C
    .language_version:
      - 2
      - 0
    .max_flat_workgroup_size: 1024
    .name:           _Z21device_test_warp_maskILj55EEvP10TestStatus
    .private_segment_fixed_size: 0
    .sgpr_count:     10
    .sgpr_spill_count: 0
    .symbol:         _Z21device_test_warp_maskILj55EEvP10TestStatus.kd
    .uniform_work_group_size: 1
    .uses_dynamic_stack: false
    .vgpr_count:     2
    .vgpr_spill_count: 0
    .wavefront_size: 64
  - .agpr_count:     0
    .args:
      - .address_space:  global
        .offset:         0
        .size:           8
        .value_kind:     global_buffer
    .group_segment_fixed_size: 0
    .kernarg_segment_align: 8
    .kernarg_segment_size: 8
    .language:       OpenCL C
    .language_version:
      - 2
      - 0
    .max_flat_workgroup_size: 1024
    .name:           _Z21device_test_warp_maskILj56EEvP10TestStatus
    .private_segment_fixed_size: 0
    .sgpr_count:     10
    .sgpr_spill_count: 0
    .symbol:         _Z21device_test_warp_maskILj56EEvP10TestStatus.kd
    .uniform_work_group_size: 1
    .uses_dynamic_stack: false
    .vgpr_count:     2
    .vgpr_spill_count: 0
    .wavefront_size: 64
  - .agpr_count:     0
    .args:
      - .address_space:  global
        .offset:         0
        .size:           8
        .value_kind:     global_buffer
    .group_segment_fixed_size: 0
    .kernarg_segment_align: 8
    .kernarg_segment_size: 8
    .language:       OpenCL C
    .language_version:
      - 2
      - 0
    .max_flat_workgroup_size: 1024
    .name:           _Z21device_test_warp_maskILj57EEvP10TestStatus
    .private_segment_fixed_size: 0
    .sgpr_count:     10
    .sgpr_spill_count: 0
    .symbol:         _Z21device_test_warp_maskILj57EEvP10TestStatus.kd
    .uniform_work_group_size: 1
    .uses_dynamic_stack: false
    .vgpr_count:     2
    .vgpr_spill_count: 0
    .wavefront_size: 64
  - .agpr_count:     0
    .args:
      - .address_space:  global
        .offset:         0
        .size:           8
        .value_kind:     global_buffer
    .group_segment_fixed_size: 0
    .kernarg_segment_align: 8
    .kernarg_segment_size: 8
    .language:       OpenCL C
    .language_version:
      - 2
      - 0
    .max_flat_workgroup_size: 1024
    .name:           _Z21device_test_warp_maskILj58EEvP10TestStatus
    .private_segment_fixed_size: 0
    .sgpr_count:     10
    .sgpr_spill_count: 0
    .symbol:         _Z21device_test_warp_maskILj58EEvP10TestStatus.kd
    .uniform_work_group_size: 1
    .uses_dynamic_stack: false
    .vgpr_count:     2
    .vgpr_spill_count: 0
    .wavefront_size: 64
  - .agpr_count:     0
    .args:
      - .address_space:  global
        .offset:         0
        .size:           8
        .value_kind:     global_buffer
    .group_segment_fixed_size: 0
    .kernarg_segment_align: 8
    .kernarg_segment_size: 8
    .language:       OpenCL C
    .language_version:
      - 2
      - 0
    .max_flat_workgroup_size: 1024
    .name:           _Z21device_test_warp_maskILj59EEvP10TestStatus
    .private_segment_fixed_size: 0
    .sgpr_count:     10
    .sgpr_spill_count: 0
    .symbol:         _Z21device_test_warp_maskILj59EEvP10TestStatus.kd
    .uniform_work_group_size: 1
    .uses_dynamic_stack: false
    .vgpr_count:     2
    .vgpr_spill_count: 0
    .wavefront_size: 64
  - .agpr_count:     0
    .args:
      - .address_space:  global
        .offset:         0
        .size:           8
        .value_kind:     global_buffer
    .group_segment_fixed_size: 0
    .kernarg_segment_align: 8
    .kernarg_segment_size: 8
    .language:       OpenCL C
    .language_version:
      - 2
      - 0
    .max_flat_workgroup_size: 1024
    .name:           _Z21device_test_warp_maskILj60EEvP10TestStatus
    .private_segment_fixed_size: 0
    .sgpr_count:     10
    .sgpr_spill_count: 0
    .symbol:         _Z21device_test_warp_maskILj60EEvP10TestStatus.kd
    .uniform_work_group_size: 1
    .uses_dynamic_stack: false
    .vgpr_count:     2
    .vgpr_spill_count: 0
    .wavefront_size: 64
  - .agpr_count:     0
    .args:
      - .address_space:  global
        .offset:         0
        .size:           8
        .value_kind:     global_buffer
    .group_segment_fixed_size: 0
    .kernarg_segment_align: 8
    .kernarg_segment_size: 8
    .language:       OpenCL C
    .language_version:
      - 2
      - 0
    .max_flat_workgroup_size: 1024
    .name:           _Z21device_test_warp_maskILj61EEvP10TestStatus
    .private_segment_fixed_size: 0
    .sgpr_count:     10
    .sgpr_spill_count: 0
    .symbol:         _Z21device_test_warp_maskILj61EEvP10TestStatus.kd
    .uniform_work_group_size: 1
    .uses_dynamic_stack: false
    .vgpr_count:     2
    .vgpr_spill_count: 0
    .wavefront_size: 64
  - .agpr_count:     0
    .args:
      - .address_space:  global
        .offset:         0
        .size:           8
        .value_kind:     global_buffer
    .group_segment_fixed_size: 0
    .kernarg_segment_align: 8
    .kernarg_segment_size: 8
    .language:       OpenCL C
    .language_version:
      - 2
      - 0
    .max_flat_workgroup_size: 1024
    .name:           _Z21device_test_warp_maskILj62EEvP10TestStatus
    .private_segment_fixed_size: 0
    .sgpr_count:     10
    .sgpr_spill_count: 0
    .symbol:         _Z21device_test_warp_maskILj62EEvP10TestStatus.kd
    .uniform_work_group_size: 1
    .uses_dynamic_stack: false
    .vgpr_count:     2
    .vgpr_spill_count: 0
    .wavefront_size: 64
  - .agpr_count:     0
    .args:
      - .address_space:  global
        .offset:         0
        .size:           8
        .value_kind:     global_buffer
    .group_segment_fixed_size: 0
    .kernarg_segment_align: 8
    .kernarg_segment_size: 8
    .language:       OpenCL C
    .language_version:
      - 2
      - 0
    .max_flat_workgroup_size: 1024
    .name:           _Z21device_test_warp_maskILj63EEvP10TestStatus
    .private_segment_fixed_size: 0
    .sgpr_count:     10
    .sgpr_spill_count: 0
    .symbol:         _Z21device_test_warp_maskILj63EEvP10TestStatus.kd
    .uniform_work_group_size: 1
    .uses_dynamic_stack: false
    .vgpr_count:     2
    .vgpr_spill_count: 0
    .wavefront_size: 64
  - .agpr_count:     0
    .args:
      - .address_space:  global
        .offset:         0
        .size:           8
        .value_kind:     global_buffer
    .group_segment_fixed_size: 0
    .kernarg_segment_align: 8
    .kernarg_segment_size: 8
    .language:       OpenCL C
    .language_version:
      - 2
      - 0
    .max_flat_workgroup_size: 1024
    .name:           _Z21device_test_warp_maskILj64EEvP10TestStatus
    .private_segment_fixed_size: 0
    .sgpr_count:     10
    .sgpr_spill_count: 0
    .symbol:         _Z21device_test_warp_maskILj64EEvP10TestStatus.kd
    .uniform_work_group_size: 1
    .uses_dynamic_stack: false
    .vgpr_count:     2
    .vgpr_spill_count: 0
    .wavefront_size: 64
amdhsa.target:   amdgcn-amd-amdhsa--gfx90a
amdhsa.version:
  - 1
  - 2
...

	.end_amdgpu_metadata
